;; amdgpu-corpus repo=ROCm/bitsandbytes kind=harvested arch=n/a opt=n/a
	.text
	.amdgcn_target "amdgcn-amd-amdhsa--gfx1100"
	.amdhsa_code_object_version 6
	.protected	_Z26kgemm_4bit_inference_naiveI12hip_bfloat16Li128ELi16EEviiiPT_PhPfPKfS2_iiii ; -- Begin function _Z26kgemm_4bit_inference_naiveI12hip_bfloat16Li128ELi16EEviiiPT_PhPfPKfS2_iiii
	.globl	_Z26kgemm_4bit_inference_naiveI12hip_bfloat16Li128ELi16EEviiiPT_PhPfPKfS2_iiii
	.p2align	8
	.type	_Z26kgemm_4bit_inference_naiveI12hip_bfloat16Li128ELi16EEviiiPT_PhPfPKfS2_iiii,@function
_Z26kgemm_4bit_inference_naiveI12hip_bfloat16Li128ELi16EEviiiPT_PhPfPKfS2_iiii: ; @_Z26kgemm_4bit_inference_naiveI12hip_bfloat16Li128ELi16EEviiiPT_PhPfPKfS2_iiii
; %bb.0:
	s_clause 0x1
	s_load_b64 s[12:13], s[0:1], 0x10
	s_load_b256 s[4:11], s[0:1], 0x18
	s_mov_b32 s2, exec_lo
	v_cmpx_gt_u32_e32 16, v0
	s_cbranch_execz .LBB29_6
; %bb.1:
	v_lshlrev_b32_e32 v1, 2, v0
	s_waitcnt lgkmcnt(0)
	global_load_b32 v1, v1, s[8:9]
	s_waitcnt vmcnt(0)
	v_and_b32_e32 v2, 0x7f800000, v1
	s_delay_alu instid0(VALU_DEP_1) | instskip(SKIP_1) | instid1(SALU_CYCLE_1)
	v_cmp_ne_u32_e32 vcc_lo, 0x7f800000, v2
                                        ; implicit-def: $vgpr2
	s_and_saveexec_b32 s3, vcc_lo
	s_xor_b32 s3, exec_lo, s3
; %bb.2:
	v_bfe_u32 v2, v1, 16, 1
	s_delay_alu instid0(VALU_DEP_1)
	v_add3_u32 v2, v1, v2, 0x7fff
                                        ; implicit-def: $vgpr1
; %bb.3:
	s_and_not1_saveexec_b32 s3, s3
; %bb.4:
	v_and_b32_e32 v2, 0xffff, v1
	v_or_b32_e32 v3, 0x10000, v1
	s_delay_alu instid0(VALU_DEP_2) | instskip(NEXT) | instid1(VALU_DEP_2)
	v_cmp_eq_u32_e32 vcc_lo, 0, v2
	v_cndmask_b32_e32 v2, v3, v1, vcc_lo
; %bb.5:
	s_or_b32 exec_lo, exec_lo, s3
	v_lshlrev_b32_e32 v1, 1, v0
	ds_store_b16_d16_hi v1, v2
.LBB29_6:
	s_or_b32 exec_lo, exec_lo, s2
	s_waitcnt lgkmcnt(0)
	s_clause 0x1
	s_load_b32 s8, s[0:1], 0x8
	s_load_b32 s3, s[0:1], 0x0
	v_and_b32_e32 v16, 31, v0
	v_lshrrev_b32_e32 v0, 5, v0
	s_mov_b32 s9, exec_lo
	s_waitcnt lgkmcnt(0)
	s_delay_alu instid0(VALU_DEP_2) | instskip(NEXT) | instid1(VALU_DEP_2)
	v_dual_mov_b32 v22, 0 :: v_dual_lshlrev_b32 v17, 5, v16
	v_lshl_add_u32 v8, s15, 2, v0
	s_barrier
	buffer_gl0_inv
	v_cmpx_gt_i32_e64 s8, v17
	s_cbranch_execz .LBB29_394
; %bb.7:
	s_clause 0x1
	s_load_b32 s2, s[0:1], 0x44
	s_load_b32 s0, s[0:1], 0x3c
	v_lshlrev_b32_e32 v0, 6, v16
	s_lshr_b32 s14, s8, 1
	v_cmp_gt_i32_e32 vcc_lo, s3, v8
	s_add_i32 s15, s14, -16
	v_dual_mov_b32 v10, 0 :: v_dual_add_nc_u32 v19, 32, v17
	v_add_co_u32 v0, s1, v0, s12
	s_delay_alu instid0(VALU_DEP_1)
	v_add_co_ci_u32_e64 v1, null, 0, s13, s1
	v_lshlrev_b32_e32 v18, 4, v16
	s_mov_b32 s53, 0
	s_waitcnt lgkmcnt(0)
	s_clz_i32_u32 s1, s2
	v_mul_lo_u32 v20, v8, s0
	s_min_u32 s1, s1, 32
	v_add_co_u32 v11, s0, v0, 62
	s_sub_i32 s16, 31, s1
	s_add_u32 s17, s4, 1
	s_addc_u32 s18, s5, 0
	s_add_u32 s19, s4, 2
	s_addc_u32 s20, s5, 0
	;; [unrolled: 2-line block ×16, first 2 shown]
	v_dual_mov_b32 v22, 0 :: v_dual_lshlrev_b32 v21, 1, v20
	v_add_co_ci_u32_e64 v12, s0, 0, v1, s0
	s_add_u32 s50, s12, 32
	s_addc_u32 s51, s13, 0
	s_add_u32 s52, s12, 48
	s_addc_u32 s54, s13, 0
	s_branch .LBB29_9
.LBB29_8:                               ;   in Loop: Header=BB29_9 Depth=1
	s_or_b32 exec_lo, exec_lo, s1
	v_and_b32_e32 v14, 0xffff0000, v14
	v_and_b32_e32 v15, 0xffff0000, v15
	;; [unrolled: 1-line block ×5, first 2 shown]
	v_add_f32_e32 v14, v22, v14
	v_and_b32_e32 v22, 0xffff0000, v27
	v_and_b32_e32 v4, 0xffff0000, v4
	v_add_co_u32 v11, s0, 0x800, v11
	s_delay_alu instid0(VALU_DEP_4) | instskip(SKIP_2) | instid1(VALU_DEP_3)
	v_dual_add_f32 v14, v14, v15 :: v_dual_and_b32 v15, 0xffff0000, v28
	v_add_co_ci_u32_e64 v12, s0, 0, v12, s0
	v_add_nc_u32_e32 v18, 0x200, v18
	v_add_f32_e32 v14, v14, v22
	v_and_b32_e32 v22, 0xffff0000, v29
	v_and_b32_e32 v1, 0xffff0000, v1
	;; [unrolled: 1-line block ×3, first 2 shown]
	s_delay_alu instid0(VALU_DEP_4) | instskip(SKIP_1) | instid1(VALU_DEP_2)
	v_dual_add_f32 v14, v14, v15 :: v_dual_add_nc_u32 v17, 0x400, v17
	v_and_b32_e32 v15, 0xffff0000, v30
	v_add_f32_e32 v14, v14, v22
	v_and_b32_e32 v22, 0xffff0000, v31
	s_delay_alu instid0(VALU_DEP_2) | instskip(NEXT) | instid1(VALU_DEP_1)
	v_dual_add_f32 v14, v14, v15 :: v_dual_and_b32 v15, 0xffff0000, v32
	v_add_f32_e32 v14, v14, v22
	v_and_b32_e32 v22, 0xffff0000, v35
	s_delay_alu instid0(VALU_DEP_2) | instskip(NEXT) | instid1(VALU_DEP_1)
	v_dual_add_f32 v14, v14, v15 :: v_dual_and_b32 v15, 0xffff0000, v36
	;; [unrolled: 4-line block ×5, first 2 shown]
	v_add_f32_e32 v14, v14, v22
	s_delay_alu instid0(VALU_DEP_1) | instskip(NEXT) | instid1(VALU_DEP_1)
	v_dual_add_f32 v14, v14, v15 :: v_dual_and_b32 v15, 0xffff0000, v33
	v_dual_add_f32 v13, v14, v13 :: v_dual_and_b32 v14, 0xffff0000, v34
	s_delay_alu instid0(VALU_DEP_1) | instskip(SKIP_1) | instid1(VALU_DEP_2)
	v_add_f32_e32 v13, v13, v15
	v_and_b32_e32 v15, 0xffff0000, v43
	v_dual_add_f32 v13, v13, v14 :: v_dual_and_b32 v14, 0xffff0000, v44
	s_delay_alu instid0(VALU_DEP_1) | instskip(NEXT) | instid1(VALU_DEP_1)
	v_add_f32_e32 v13, v13, v15
	v_dual_add_f32 v6, v13, v6 :: v_dual_and_b32 v13, 0xffff0000, v45
	s_delay_alu instid0(VALU_DEP_1) | instskip(NEXT) | instid1(VALU_DEP_1)
	v_add_f32_e32 v6, v6, v14
	v_add_f32_e32 v6, v6, v7
	s_delay_alu instid0(VALU_DEP_1) | instskip(NEXT) | instid1(VALU_DEP_1)
	v_add_f32_e32 v6, v6, v13
	v_add_f32_e32 v0, v6, v0
	s_delay_alu instid0(VALU_DEP_1) | instskip(SKIP_1) | instid1(VALU_DEP_2)
	v_add_f32_e32 v0, v0, v4
	v_and_b32_e32 v4, 0xffff0000, v5
	v_dual_add_f32 v0, v0, v1 :: v_dual_and_b32 v1, 0xffff0000, v2
	v_and_b32_e32 v2, 0xffff0000, v23
	s_delay_alu instid0(VALU_DEP_2) | instskip(SKIP_1) | instid1(VALU_DEP_2)
	v_add_f32_e32 v0, v0, v4
	v_add_nc_u32_e32 v4, 0x3e0, v19
	v_dual_add_f32 v0, v0, v1 :: v_dual_and_b32 v1, 0xffff0000, v3
	v_add_nc_u32_e32 v3, 0x400, v19
	s_delay_alu instid0(VALU_DEP_3) | instskip(NEXT) | instid1(VALU_DEP_3)
	v_cmp_le_i32_e64 s0, s8, v4
	v_add_f32_e32 v0, v0, v2
	s_delay_alu instid0(VALU_DEP_3) | instskip(NEXT) | instid1(VALU_DEP_3)
	v_dual_mov_b32 v19, v3 :: v_dual_and_b32 v2, 0xffff0000, v9
	s_or_b32 s53, s0, s53
	s_delay_alu instid0(VALU_DEP_2) | instskip(NEXT) | instid1(VALU_DEP_1)
	v_add_f32_e32 v0, v0, v1
	v_add_f32_e32 v22, v0, v2
	s_and_not1_b32 exec_lo, exec_lo, s53
	s_cbranch_execz .LBB29_393
.LBB29_9:                               ; =>This Inner Loop Header: Depth=1
	v_add3_u32 v0, v21, v19, 0xffffffe0
                                        ; implicit-def: $vgpr15
	s_delay_alu instid0(VALU_DEP_1) | instskip(NEXT) | instid1(VALU_DEP_1)
	v_ashrrev_i32_e32 v0, s16, v0
	v_ashrrev_i32_e32 v1, 31, v0
	s_delay_alu instid0(VALU_DEP_1) | instskip(NEXT) | instid1(VALU_DEP_1)
	v_lshlrev_b64 v[0:1], 2, v[0:1]
	v_add_co_u32 v0, s0, s6, v0
	s_delay_alu instid0(VALU_DEP_1) | instskip(SKIP_3) | instid1(VALU_DEP_1)
	v_add_co_ci_u32_e64 v1, s0, s7, v1, s0
	global_load_b32 v0, v[0:1], off
	s_waitcnt vmcnt(0)
	v_and_b32_e32 v1, 0x7f800000, v0
	v_cmp_ne_u32_e64 s0, 0x7f800000, v1
	s_delay_alu instid0(VALU_DEP_1) | instskip(NEXT) | instid1(SALU_CYCLE_1)
	s_and_saveexec_b32 s1, s0
	s_xor_b32 s0, exec_lo, s1
; %bb.10:                               ;   in Loop: Header=BB29_9 Depth=1
	v_bfe_u32 v1, v0, 16, 1
	s_delay_alu instid0(VALU_DEP_1)
	v_add3_u32 v15, v0, v1, 0x7fff
                                        ; implicit-def: $vgpr0
; %bb.11:                               ;   in Loop: Header=BB29_9 Depth=1
	s_and_not1_saveexec_b32 s1, s0
; %bb.12:                               ;   in Loop: Header=BB29_9 Depth=1
	v_and_b32_e32 v1, 0xffff, v0
	v_or_b32_e32 v2, 0x10000, v0
	s_delay_alu instid0(VALU_DEP_2) | instskip(NEXT) | instid1(VALU_DEP_1)
	v_cmp_eq_u32_e64 s0, 0, v1
	v_cndmask_b32_e64 v15, v2, v0, s0
; %bb.13:                               ;   in Loop: Header=BB29_9 Depth=1
	s_or_b32 exec_lo, exec_lo, s1
	v_dual_mov_b32 v25, 0x77 :: v_dual_mov_b32 v24, 0x77
	v_dual_mov_b32 v23, 0x77 :: v_dual_mov_b32 v34, 0x77
	v_dual_mov_b32 v3, 0x77 :: v_dual_mov_b32 v2, 0x77
	v_dual_mov_b32 v13, 0x77 :: v_dual_mov_b32 v36, 0x77
	v_dual_mov_b32 v33, 0x77 :: v_dual_mov_b32 v4, 0x77
	v_dual_mov_b32 v35, 0x77 :: v_dual_mov_b32 v0, 0x77
	v_mov_b32_e32 v37, 0x77
	v_mov_b32_e32 v1, 0x77
	;; [unrolled: 1-line block ×4, first 2 shown]
	s_and_saveexec_b32 s1, vcc_lo
	s_cbranch_execz .LBB29_19
; %bb.14:                               ;   in Loop: Header=BB29_9 Depth=1
	v_add_nc_u32_e32 v14, v20, v18
	s_mov_b32 s55, 0
	s_mov_b32 s2, exec_lo
                                        ; implicit-def: $vgpr0
                                        ; implicit-def: $vgpr9
                                        ; implicit-def: $vgpr7
                                        ; implicit-def: $vgpr4
                                        ; implicit-def: $vgpr37
                                        ; implicit-def: $vgpr36
                                        ; implicit-def: $vgpr35
                                        ; implicit-def: $vgpr34
                                        ; implicit-def: $vgpr33
                                        ; implicit-def: $vgpr13
                                        ; implicit-def: $vgpr24
                                        ; implicit-def: $vgpr23
                                        ; implicit-def: $sgpr56
                                        ; implicit-def: $vgpr5_vgpr6
	s_delay_alu instid0(VALU_DEP_1)
	v_ashrrev_i32_e32 v25, 31, v14
	v_cmpx_le_i32_e64 s15, v18
	s_xor_b32 s2, exec_lo, s2
	s_cbranch_execnz .LBB29_359
; %bb.15:                               ;   in Loop: Header=BB29_9 Depth=1
	s_and_not1_saveexec_b32 s2, s2
	s_cbranch_execnz .LBB29_392
.LBB29_16:                              ;   in Loop: Header=BB29_9 Depth=1
	s_or_b32 exec_lo, exec_lo, s2
	v_mov_b32_e32 v25, s56
	s_and_saveexec_b32 s0, s55
	s_cbranch_execz .LBB29_18
.LBB29_17:                              ;   in Loop: Header=BB29_9 Depth=1
	global_load_u8 v25, v[5:6], off
.LBB29_18:                              ;   in Loop: Header=BB29_9 Depth=1
	s_or_b32 exec_lo, exec_lo, s0
.LBB29_19:                              ;   in Loop: Header=BB29_9 Depth=1
	s_delay_alu instid0(SALU_CYCLE_1) | instskip(SKIP_3) | instid1(VALU_DEP_2)
	s_or_b32 exec_lo, exec_lo, s1
	s_waitcnt vmcnt(0)
	v_lshrrev_b16 v5, 4, v0
	v_and_b32_e32 v26, 0xffff0000, v15
                                        ; implicit-def: $vgpr27
	v_and_b32_e32 v5, 15, v5
	s_delay_alu instid0(VALU_DEP_1) | instskip(NEXT) | instid1(VALU_DEP_1)
	v_and_b32_e32 v5, 0xffff, v5
	v_lshlrev_b32_e32 v5, 1, v5
	ds_load_u16 v5, v5
	s_waitcnt lgkmcnt(0)
	v_lshlrev_b32_e32 v5, 16, v5
	s_delay_alu instid0(VALU_DEP_1) | instskip(NEXT) | instid1(VALU_DEP_1)
	v_mul_f32_e32 v5, v26, v5
	v_and_b32_e32 v6, 0x7f800000, v5
	s_delay_alu instid0(VALU_DEP_1) | instskip(NEXT) | instid1(VALU_DEP_1)
	v_cmp_ne_u32_e64 s0, 0x7f800000, v6
	s_and_saveexec_b32 s1, s0
	s_delay_alu instid0(SALU_CYCLE_1)
	s_xor_b32 s0, exec_lo, s1
; %bb.20:                               ;   in Loop: Header=BB29_9 Depth=1
	v_bfe_u32 v6, v5, 16, 1
	s_delay_alu instid0(VALU_DEP_1)
	v_add3_u32 v27, v5, v6, 0x7fff
                                        ; implicit-def: $vgpr5
; %bb.21:                               ;   in Loop: Header=BB29_9 Depth=1
	s_and_not1_saveexec_b32 s1, s0
; %bb.22:                               ;   in Loop: Header=BB29_9 Depth=1
	v_and_b32_e32 v6, 0xffff, v5
	v_or_b32_e32 v14, 0x10000, v5
	s_delay_alu instid0(VALU_DEP_2) | instskip(NEXT) | instid1(VALU_DEP_1)
	v_cmp_eq_u32_e64 s0, 0, v6
	v_cndmask_b32_e64 v27, v14, v5, s0
; %bb.23:                               ;   in Loop: Header=BB29_9 Depth=1
	s_or_b32 exec_lo, exec_lo, s1
	v_and_b32_e32 v0, 15, v0
	s_delay_alu instid0(VALU_DEP_1) | instskip(SKIP_3) | instid1(VALU_DEP_1)
	v_lshlrev_b32_e32 v0, 1, v0
	ds_load_u16 v0, v0
	s_waitcnt lgkmcnt(0)
	v_lshlrev_b32_e32 v0, 16, v0
	v_mul_f32_e32 v5, v26, v0
	s_delay_alu instid0(VALU_DEP_1) | instskip(NEXT) | instid1(VALU_DEP_1)
	v_and_b32_e32 v0, 0x7f800000, v5
	v_cmp_ne_u32_e64 s0, 0x7f800000, v0
                                        ; implicit-def: $vgpr0
	s_delay_alu instid0(VALU_DEP_1) | instskip(NEXT) | instid1(SALU_CYCLE_1)
	s_and_saveexec_b32 s1, s0
	s_xor_b32 s0, exec_lo, s1
; %bb.24:                               ;   in Loop: Header=BB29_9 Depth=1
	v_bfe_u32 v0, v5, 16, 1
	s_delay_alu instid0(VALU_DEP_1)
	v_add3_u32 v0, v5, v0, 0x7fff
                                        ; implicit-def: $vgpr5
; %bb.25:                               ;   in Loop: Header=BB29_9 Depth=1
	s_and_not1_saveexec_b32 s1, s0
; %bb.26:                               ;   in Loop: Header=BB29_9 Depth=1
	v_and_b32_e32 v0, 0xffff, v5
	v_or_b32_e32 v6, 0x10000, v5
	s_delay_alu instid0(VALU_DEP_2) | instskip(NEXT) | instid1(VALU_DEP_1)
	v_cmp_eq_u32_e64 s0, 0, v0
	v_cndmask_b32_e64 v0, v6, v5, s0
; %bb.27:                               ;   in Loop: Header=BB29_9 Depth=1
	s_or_b32 exec_lo, exec_lo, s1
	v_lshrrev_b16 v5, 4, v9
                                        ; implicit-def: $vgpr28
	s_delay_alu instid0(VALU_DEP_1) | instskip(NEXT) | instid1(VALU_DEP_1)
	v_and_b32_e32 v5, 15, v5
	v_and_b32_e32 v5, 0xffff, v5
	s_delay_alu instid0(VALU_DEP_1) | instskip(SKIP_3) | instid1(VALU_DEP_1)
	v_lshlrev_b32_e32 v5, 1, v5
	ds_load_u16 v5, v5
	s_waitcnt lgkmcnt(0)
	v_lshlrev_b32_e32 v5, 16, v5
	v_mul_f32_e32 v5, v26, v5
	s_delay_alu instid0(VALU_DEP_1) | instskip(NEXT) | instid1(VALU_DEP_1)
	v_and_b32_e32 v6, 0x7f800000, v5
	v_cmp_ne_u32_e64 s0, 0x7f800000, v6
	s_delay_alu instid0(VALU_DEP_1) | instskip(NEXT) | instid1(SALU_CYCLE_1)
	s_and_saveexec_b32 s1, s0
	s_xor_b32 s0, exec_lo, s1
; %bb.28:                               ;   in Loop: Header=BB29_9 Depth=1
	v_bfe_u32 v6, v5, 16, 1
	s_delay_alu instid0(VALU_DEP_1)
	v_add3_u32 v28, v5, v6, 0x7fff
                                        ; implicit-def: $vgpr5
; %bb.29:                               ;   in Loop: Header=BB29_9 Depth=1
	s_and_not1_saveexec_b32 s1, s0
; %bb.30:                               ;   in Loop: Header=BB29_9 Depth=1
	v_and_b32_e32 v6, 0xffff, v5
	v_or_b32_e32 v14, 0x10000, v5
	s_delay_alu instid0(VALU_DEP_2) | instskip(NEXT) | instid1(VALU_DEP_1)
	v_cmp_eq_u32_e64 s0, 0, v6
	v_cndmask_b32_e64 v28, v14, v5, s0
; %bb.31:                               ;   in Loop: Header=BB29_9 Depth=1
	s_or_b32 exec_lo, exec_lo, s1
	v_and_b32_e32 v5, 15, v9
                                        ; implicit-def: $vgpr29
	s_delay_alu instid0(VALU_DEP_1) | instskip(SKIP_3) | instid1(VALU_DEP_1)
	v_lshlrev_b32_e32 v5, 1, v5
	ds_load_u16 v5, v5
	s_waitcnt lgkmcnt(0)
	v_lshlrev_b32_e32 v5, 16, v5
	v_mul_f32_e32 v5, v26, v5
	s_delay_alu instid0(VALU_DEP_1) | instskip(NEXT) | instid1(VALU_DEP_1)
	v_and_b32_e32 v6, 0x7f800000, v5
	v_cmp_ne_u32_e64 s0, 0x7f800000, v6
	s_delay_alu instid0(VALU_DEP_1) | instskip(NEXT) | instid1(SALU_CYCLE_1)
	s_and_saveexec_b32 s1, s0
	s_xor_b32 s0, exec_lo, s1
; %bb.32:                               ;   in Loop: Header=BB29_9 Depth=1
	v_bfe_u32 v6, v5, 16, 1
	s_delay_alu instid0(VALU_DEP_1)
	v_add3_u32 v29, v5, v6, 0x7fff
                                        ; implicit-def: $vgpr5
; %bb.33:                               ;   in Loop: Header=BB29_9 Depth=1
	s_and_not1_saveexec_b32 s1, s0
; %bb.34:                               ;   in Loop: Header=BB29_9 Depth=1
	v_and_b32_e32 v6, 0xffff, v5
	v_or_b32_e32 v9, 0x10000, v5
	s_delay_alu instid0(VALU_DEP_2) | instskip(NEXT) | instid1(VALU_DEP_1)
	v_cmp_eq_u32_e64 s0, 0, v6
	v_cndmask_b32_e64 v29, v9, v5, s0
; %bb.35:                               ;   in Loop: Header=BB29_9 Depth=1
	s_or_b32 exec_lo, exec_lo, s1
	v_lshrrev_b16 v5, 4, v7
                                        ; implicit-def: $vgpr30
	s_delay_alu instid0(VALU_DEP_1) | instskip(NEXT) | instid1(VALU_DEP_1)
	v_and_b32_e32 v5, 15, v5
	v_and_b32_e32 v5, 0xffff, v5
	s_delay_alu instid0(VALU_DEP_1) | instskip(SKIP_3) | instid1(VALU_DEP_1)
	v_lshlrev_b32_e32 v5, 1, v5
	ds_load_u16 v5, v5
	s_waitcnt lgkmcnt(0)
	v_lshlrev_b32_e32 v5, 16, v5
	v_mul_f32_e32 v5, v26, v5
	s_delay_alu instid0(VALU_DEP_1) | instskip(NEXT) | instid1(VALU_DEP_1)
	v_and_b32_e32 v6, 0x7f800000, v5
	v_cmp_ne_u32_e64 s0, 0x7f800000, v6
	s_delay_alu instid0(VALU_DEP_1) | instskip(NEXT) | instid1(SALU_CYCLE_1)
	s_and_saveexec_b32 s1, s0
	s_xor_b32 s0, exec_lo, s1
; %bb.36:                               ;   in Loop: Header=BB29_9 Depth=1
	v_bfe_u32 v6, v5, 16, 1
	s_delay_alu instid0(VALU_DEP_1)
	v_add3_u32 v30, v5, v6, 0x7fff
                                        ; implicit-def: $vgpr5
; %bb.37:                               ;   in Loop: Header=BB29_9 Depth=1
	s_and_not1_saveexec_b32 s1, s0
; %bb.38:                               ;   in Loop: Header=BB29_9 Depth=1
	v_and_b32_e32 v6, 0xffff, v5
	v_or_b32_e32 v9, 0x10000, v5
	s_delay_alu instid0(VALU_DEP_2) | instskip(NEXT) | instid1(VALU_DEP_1)
	v_cmp_eq_u32_e64 s0, 0, v6
	v_cndmask_b32_e64 v30, v9, v5, s0
; %bb.39:                               ;   in Loop: Header=BB29_9 Depth=1
	s_or_b32 exec_lo, exec_lo, s1
	v_and_b32_e32 v5, 15, v7
                                        ; implicit-def: $vgpr31
	s_delay_alu instid0(VALU_DEP_1) | instskip(SKIP_3) | instid1(VALU_DEP_1)
	v_lshlrev_b32_e32 v5, 1, v5
	ds_load_u16 v5, v5
	s_waitcnt lgkmcnt(0)
	v_lshlrev_b32_e32 v5, 16, v5
	v_mul_f32_e32 v5, v26, v5
	s_delay_alu instid0(VALU_DEP_1) | instskip(NEXT) | instid1(VALU_DEP_1)
	v_and_b32_e32 v6, 0x7f800000, v5
	v_cmp_ne_u32_e64 s0, 0x7f800000, v6
	s_delay_alu instid0(VALU_DEP_1) | instskip(NEXT) | instid1(SALU_CYCLE_1)
	s_and_saveexec_b32 s1, s0
	s_xor_b32 s0, exec_lo, s1
; %bb.40:                               ;   in Loop: Header=BB29_9 Depth=1
	v_bfe_u32 v6, v5, 16, 1
	s_delay_alu instid0(VALU_DEP_1)
	v_add3_u32 v31, v5, v6, 0x7fff
                                        ; implicit-def: $vgpr5
; %bb.41:                               ;   in Loop: Header=BB29_9 Depth=1
	s_and_not1_saveexec_b32 s1, s0
; %bb.42:                               ;   in Loop: Header=BB29_9 Depth=1
	v_and_b32_e32 v6, 0xffff, v5
	v_or_b32_e32 v7, 0x10000, v5
	s_delay_alu instid0(VALU_DEP_2) | instskip(NEXT) | instid1(VALU_DEP_1)
	v_cmp_eq_u32_e64 s0, 0, v6
	v_cndmask_b32_e64 v31, v7, v5, s0
; %bb.43:                               ;   in Loop: Header=BB29_9 Depth=1
	s_or_b32 exec_lo, exec_lo, s1
	v_lshrrev_b16 v5, 4, v4
                                        ; implicit-def: $vgpr32
	s_delay_alu instid0(VALU_DEP_1) | instskip(NEXT) | instid1(VALU_DEP_1)
	v_and_b32_e32 v5, 15, v5
	v_and_b32_e32 v5, 0xffff, v5
	s_delay_alu instid0(VALU_DEP_1) | instskip(SKIP_3) | instid1(VALU_DEP_1)
	v_lshlrev_b32_e32 v5, 1, v5
	ds_load_u16 v5, v5
	s_waitcnt lgkmcnt(0)
	v_lshlrev_b32_e32 v5, 16, v5
	v_mul_f32_e32 v5, v26, v5
	s_delay_alu instid0(VALU_DEP_1) | instskip(NEXT) | instid1(VALU_DEP_1)
	v_and_b32_e32 v6, 0x7f800000, v5
	v_cmp_ne_u32_e64 s0, 0x7f800000, v6
	s_delay_alu instid0(VALU_DEP_1) | instskip(NEXT) | instid1(SALU_CYCLE_1)
	s_and_saveexec_b32 s1, s0
	s_xor_b32 s0, exec_lo, s1
; %bb.44:                               ;   in Loop: Header=BB29_9 Depth=1
	v_bfe_u32 v6, v5, 16, 1
	s_delay_alu instid0(VALU_DEP_1)
	v_add3_u32 v32, v5, v6, 0x7fff
                                        ; implicit-def: $vgpr5
; %bb.45:                               ;   in Loop: Header=BB29_9 Depth=1
	s_and_not1_saveexec_b32 s1, s0
; %bb.46:                               ;   in Loop: Header=BB29_9 Depth=1
	v_and_b32_e32 v6, 0xffff, v5
	v_or_b32_e32 v7, 0x10000, v5
	s_delay_alu instid0(VALU_DEP_2) | instskip(NEXT) | instid1(VALU_DEP_1)
	v_cmp_eq_u32_e64 s0, 0, v6
	v_cndmask_b32_e64 v32, v7, v5, s0
; %bb.47:                               ;   in Loop: Header=BB29_9 Depth=1
	s_or_b32 exec_lo, exec_lo, s1
	v_and_b32_e32 v4, 15, v4
                                        ; implicit-def: $vgpr38
	s_delay_alu instid0(VALU_DEP_1) | instskip(SKIP_3) | instid1(VALU_DEP_1)
	v_lshlrev_b32_e32 v4, 1, v4
	ds_load_u16 v4, v4
	s_waitcnt lgkmcnt(0)
	v_lshlrev_b32_e32 v4, 16, v4
	v_mul_f32_e32 v4, v26, v4
	s_delay_alu instid0(VALU_DEP_1) | instskip(NEXT) | instid1(VALU_DEP_1)
	v_and_b32_e32 v5, 0x7f800000, v4
	v_cmp_ne_u32_e64 s0, 0x7f800000, v5
	s_delay_alu instid0(VALU_DEP_1) | instskip(NEXT) | instid1(SALU_CYCLE_1)
	s_and_saveexec_b32 s1, s0
	s_xor_b32 s0, exec_lo, s1
; %bb.48:                               ;   in Loop: Header=BB29_9 Depth=1
	v_bfe_u32 v5, v4, 16, 1
	s_delay_alu instid0(VALU_DEP_1)
	v_add3_u32 v38, v4, v5, 0x7fff
                                        ; implicit-def: $vgpr4
; %bb.49:                               ;   in Loop: Header=BB29_9 Depth=1
	s_and_not1_saveexec_b32 s1, s0
; %bb.50:                               ;   in Loop: Header=BB29_9 Depth=1
	v_and_b32_e32 v5, 0xffff, v4
	v_or_b32_e32 v6, 0x10000, v4
	s_delay_alu instid0(VALU_DEP_2) | instskip(NEXT) | instid1(VALU_DEP_1)
	v_cmp_eq_u32_e64 s0, 0, v5
	v_cndmask_b32_e64 v38, v6, v4, s0
; %bb.51:                               ;   in Loop: Header=BB29_9 Depth=1
	s_or_b32 exec_lo, exec_lo, s1
	v_subrev_nc_u32_e32 v4, 24, v19
	s_mov_b32 s56, 0
                                        ; implicit-def: $vgpr41
                                        ; implicit-def: $vgpr40
                                        ; implicit-def: $vgpr39
                                        ; implicit-def: $vgpr14_vgpr15
                                        ; implicit-def: $sgpr2
	s_delay_alu instid0(VALU_DEP_1) | instskip(SKIP_1) | instid1(VALU_DEP_1)
	v_cmp_gt_i32_e64 s1, s8, v4
	v_cmp_le_i32_e64 s0, s8, v4
                                        ; implicit-def: $vgpr4
	s_and_saveexec_b32 s55, s0
	s_delay_alu instid0(SALU_CYCLE_1)
	s_xor_b32 s55, exec_lo, s55
	s_cbranch_execnz .LBB29_307
; %bb.52:                               ;   in Loop: Header=BB29_9 Depth=1
	s_or_saveexec_b32 s55, s55
	v_lshrrev_b32_e32 v9, 3, v17
	s_xor_b32 exec_lo, exec_lo, s55
	s_cbranch_execnz .LBB29_322
.LBB29_53:                              ;   in Loop: Header=BB29_9 Depth=1
	s_or_b32 exec_lo, exec_lo, s55
	v_mov_b32_e32 v42, s2
	s_and_saveexec_b32 s0, s56
	s_cbranch_execz .LBB29_55
.LBB29_54:                              ;   in Loop: Header=BB29_9 Depth=1
	global_load_u16 v42, v[14:15], off
.LBB29_55:                              ;   in Loop: Header=BB29_9 Depth=1
	s_or_b32 exec_lo, exec_lo, s0
	v_and_b32_e32 v14, 0xffff0000, v27
	s_waitcnt vmcnt(0)
	v_lshlrev_b32_e32 v4, 16, v4
	s_delay_alu instid0(VALU_DEP_1) | instskip(NEXT) | instid1(VALU_DEP_1)
	v_mul_f32_e32 v4, v4, v14
	v_and_b32_e32 v14, 0x7f800000, v4
	s_delay_alu instid0(VALU_DEP_1) | instskip(NEXT) | instid1(VALU_DEP_1)
	v_cmp_ne_u32_e64 s0, 0x7f800000, v14
                                        ; implicit-def: $vgpr14
	s_and_saveexec_b32 s2, s0
	s_delay_alu instid0(SALU_CYCLE_1)
	s_xor_b32 s0, exec_lo, s2
; %bb.56:                               ;   in Loop: Header=BB29_9 Depth=1
	v_bfe_u32 v14, v4, 16, 1
	s_delay_alu instid0(VALU_DEP_1)
	v_add3_u32 v14, v4, v14, 0x7fff
                                        ; implicit-def: $vgpr4
; %bb.57:                               ;   in Loop: Header=BB29_9 Depth=1
	s_and_not1_saveexec_b32 s2, s0
; %bb.58:                               ;   in Loop: Header=BB29_9 Depth=1
	v_and_b32_e32 v14, 0xffff, v4
	v_or_b32_e32 v15, 0x10000, v4
	s_delay_alu instid0(VALU_DEP_2) | instskip(NEXT) | instid1(VALU_DEP_1)
	v_cmp_eq_u32_e64 s0, 0, v14
	v_cndmask_b32_e64 v14, v15, v4, s0
; %bb.59:                               ;   in Loop: Header=BB29_9 Depth=1
	s_or_b32 exec_lo, exec_lo, s2
	v_and_b32_e32 v0, 0xffff0000, v0
	v_lshlrev_b32_e32 v4, 16, v41
                                        ; implicit-def: $vgpr15
	s_delay_alu instid0(VALU_DEP_1) | instskip(NEXT) | instid1(VALU_DEP_1)
	v_mul_f32_e32 v0, v4, v0
	v_and_b32_e32 v4, 0x7f800000, v0
	s_delay_alu instid0(VALU_DEP_1) | instskip(NEXT) | instid1(VALU_DEP_1)
	v_cmp_ne_u32_e64 s0, 0x7f800000, v4
	s_and_saveexec_b32 s2, s0
	s_delay_alu instid0(SALU_CYCLE_1)
	s_xor_b32 s0, exec_lo, s2
; %bb.60:                               ;   in Loop: Header=BB29_9 Depth=1
	v_bfe_u32 v4, v0, 16, 1
	s_delay_alu instid0(VALU_DEP_1)
	v_add3_u32 v15, v0, v4, 0x7fff
                                        ; implicit-def: $vgpr0
; %bb.61:                               ;   in Loop: Header=BB29_9 Depth=1
	s_and_not1_saveexec_b32 s2, s0
; %bb.62:                               ;   in Loop: Header=BB29_9 Depth=1
	v_and_b32_e32 v4, 0xffff, v0
	v_or_b32_e32 v15, 0x10000, v0
	s_delay_alu instid0(VALU_DEP_2) | instskip(NEXT) | instid1(VALU_DEP_1)
	v_cmp_eq_u32_e64 s0, 0, v4
	v_cndmask_b32_e64 v15, v15, v0, s0
; %bb.63:                               ;   in Loop: Header=BB29_9 Depth=1
	s_or_b32 exec_lo, exec_lo, s2
	v_and_b32_e32 v0, 0xffff0000, v28
	v_lshlrev_b32_e32 v4, 16, v5
                                        ; implicit-def: $vgpr27
	s_delay_alu instid0(VALU_DEP_1) | instskip(NEXT) | instid1(VALU_DEP_1)
	v_mul_f32_e32 v0, v4, v0
	v_and_b32_e32 v4, 0x7f800000, v0
	s_delay_alu instid0(VALU_DEP_1) | instskip(NEXT) | instid1(VALU_DEP_1)
	v_cmp_ne_u32_e64 s0, 0x7f800000, v4
	s_and_saveexec_b32 s2, s0
	s_delay_alu instid0(SALU_CYCLE_1)
	s_xor_b32 s0, exec_lo, s2
; %bb.64:                               ;   in Loop: Header=BB29_9 Depth=1
	v_bfe_u32 v4, v0, 16, 1
	s_delay_alu instid0(VALU_DEP_1)
	v_add3_u32 v27, v0, v4, 0x7fff
                                        ; implicit-def: $vgpr0
; %bb.65:                               ;   in Loop: Header=BB29_9 Depth=1
	s_and_not1_saveexec_b32 s2, s0
; %bb.66:                               ;   in Loop: Header=BB29_9 Depth=1
	v_and_b32_e32 v4, 0xffff, v0
	v_or_b32_e32 v5, 0x10000, v0
	s_delay_alu instid0(VALU_DEP_2) | instskip(NEXT) | instid1(VALU_DEP_1)
	v_cmp_eq_u32_e64 s0, 0, v4
	v_cndmask_b32_e64 v27, v5, v0, s0
; %bb.67:                               ;   in Loop: Header=BB29_9 Depth=1
	s_or_b32 exec_lo, exec_lo, s2
	v_and_b32_e32 v0, 0xffff0000, v29
	v_lshlrev_b32_e32 v4, 16, v40
                                        ; implicit-def: $vgpr28
	s_delay_alu instid0(VALU_DEP_1) | instskip(NEXT) | instid1(VALU_DEP_1)
	v_mul_f32_e32 v0, v4, v0
	v_and_b32_e32 v4, 0x7f800000, v0
	s_delay_alu instid0(VALU_DEP_1) | instskip(NEXT) | instid1(VALU_DEP_1)
	v_cmp_ne_u32_e64 s0, 0x7f800000, v4
	s_and_saveexec_b32 s2, s0
	s_delay_alu instid0(SALU_CYCLE_1)
	s_xor_b32 s0, exec_lo, s2
; %bb.68:                               ;   in Loop: Header=BB29_9 Depth=1
	v_bfe_u32 v4, v0, 16, 1
	s_delay_alu instid0(VALU_DEP_1)
	v_add3_u32 v28, v0, v4, 0x7fff
                                        ; implicit-def: $vgpr0
; %bb.69:                               ;   in Loop: Header=BB29_9 Depth=1
	s_and_not1_saveexec_b32 s2, s0
; %bb.70:                               ;   in Loop: Header=BB29_9 Depth=1
	v_and_b32_e32 v4, 0xffff, v0
	v_or_b32_e32 v5, 0x10000, v0
	s_delay_alu instid0(VALU_DEP_2) | instskip(NEXT) | instid1(VALU_DEP_1)
	v_cmp_eq_u32_e64 s0, 0, v4
	v_cndmask_b32_e64 v28, v5, v0, s0
; %bb.71:                               ;   in Loop: Header=BB29_9 Depth=1
	s_or_b32 exec_lo, exec_lo, s2
	v_and_b32_e32 v0, 0xffff0000, v30
	v_lshlrev_b32_e32 v4, 16, v6
                                        ; implicit-def: $vgpr29
	s_delay_alu instid0(VALU_DEP_1) | instskip(NEXT) | instid1(VALU_DEP_1)
	v_mul_f32_e32 v0, v4, v0
	v_and_b32_e32 v4, 0x7f800000, v0
	s_delay_alu instid0(VALU_DEP_1) | instskip(NEXT) | instid1(VALU_DEP_1)
	v_cmp_ne_u32_e64 s0, 0x7f800000, v4
	s_and_saveexec_b32 s2, s0
	s_delay_alu instid0(SALU_CYCLE_1)
	s_xor_b32 s0, exec_lo, s2
; %bb.72:                               ;   in Loop: Header=BB29_9 Depth=1
	v_bfe_u32 v4, v0, 16, 1
	s_delay_alu instid0(VALU_DEP_1)
	v_add3_u32 v29, v0, v4, 0x7fff
                                        ; implicit-def: $vgpr0
; %bb.73:                               ;   in Loop: Header=BB29_9 Depth=1
	s_and_not1_saveexec_b32 s2, s0
; %bb.74:                               ;   in Loop: Header=BB29_9 Depth=1
	v_and_b32_e32 v4, 0xffff, v0
	v_or_b32_e32 v5, 0x10000, v0
	s_delay_alu instid0(VALU_DEP_2) | instskip(NEXT) | instid1(VALU_DEP_1)
	v_cmp_eq_u32_e64 s0, 0, v4
	v_cndmask_b32_e64 v29, v5, v0, s0
; %bb.75:                               ;   in Loop: Header=BB29_9 Depth=1
	s_or_b32 exec_lo, exec_lo, s2
	v_and_b32_e32 v0, 0xffff0000, v31
	v_lshlrev_b32_e32 v4, 16, v39
                                        ; implicit-def: $vgpr30
	s_delay_alu instid0(VALU_DEP_1) | instskip(NEXT) | instid1(VALU_DEP_1)
	v_mul_f32_e32 v0, v4, v0
	v_and_b32_e32 v4, 0x7f800000, v0
	s_delay_alu instid0(VALU_DEP_1) | instskip(NEXT) | instid1(VALU_DEP_1)
	v_cmp_ne_u32_e64 s0, 0x7f800000, v4
	s_and_saveexec_b32 s2, s0
	s_delay_alu instid0(SALU_CYCLE_1)
	s_xor_b32 s0, exec_lo, s2
; %bb.76:                               ;   in Loop: Header=BB29_9 Depth=1
	v_bfe_u32 v4, v0, 16, 1
	s_delay_alu instid0(VALU_DEP_1)
	v_add3_u32 v30, v0, v4, 0x7fff
                                        ; implicit-def: $vgpr0
; %bb.77:                               ;   in Loop: Header=BB29_9 Depth=1
	s_and_not1_saveexec_b32 s2, s0
; %bb.78:                               ;   in Loop: Header=BB29_9 Depth=1
	v_and_b32_e32 v4, 0xffff, v0
	v_or_b32_e32 v5, 0x10000, v0
	s_delay_alu instid0(VALU_DEP_2) | instskip(NEXT) | instid1(VALU_DEP_1)
	v_cmp_eq_u32_e64 s0, 0, v4
	v_cndmask_b32_e64 v30, v5, v0, s0
; %bb.79:                               ;   in Loop: Header=BB29_9 Depth=1
	s_or_b32 exec_lo, exec_lo, s2
	v_and_b32_e32 v0, 0xffff0000, v32
	v_lshlrev_b32_e32 v4, 16, v7
                                        ; implicit-def: $vgpr31
	s_delay_alu instid0(VALU_DEP_1) | instskip(NEXT) | instid1(VALU_DEP_1)
	v_mul_f32_e32 v0, v4, v0
	v_and_b32_e32 v4, 0x7f800000, v0
	s_delay_alu instid0(VALU_DEP_1) | instskip(NEXT) | instid1(VALU_DEP_1)
	v_cmp_ne_u32_e64 s0, 0x7f800000, v4
	s_and_saveexec_b32 s2, s0
	s_delay_alu instid0(SALU_CYCLE_1)
	s_xor_b32 s0, exec_lo, s2
; %bb.80:                               ;   in Loop: Header=BB29_9 Depth=1
	v_bfe_u32 v4, v0, 16, 1
	s_delay_alu instid0(VALU_DEP_1)
	v_add3_u32 v31, v0, v4, 0x7fff
                                        ; implicit-def: $vgpr0
; %bb.81:                               ;   in Loop: Header=BB29_9 Depth=1
	s_and_not1_saveexec_b32 s2, s0
; %bb.82:                               ;   in Loop: Header=BB29_9 Depth=1
	v_and_b32_e32 v4, 0xffff, v0
	v_or_b32_e32 v5, 0x10000, v0
	s_delay_alu instid0(VALU_DEP_2) | instskip(NEXT) | instid1(VALU_DEP_1)
	v_cmp_eq_u32_e64 s0, 0, v4
	v_cndmask_b32_e64 v31, v5, v0, s0
; %bb.83:                               ;   in Loop: Header=BB29_9 Depth=1
	s_or_b32 exec_lo, exec_lo, s2
	v_and_b32_e32 v0, 0xffff0000, v38
	v_lshlrev_b32_e32 v4, 16, v42
                                        ; implicit-def: $vgpr32
	s_delay_alu instid0(VALU_DEP_1) | instskip(NEXT) | instid1(VALU_DEP_1)
	v_mul_f32_e32 v0, v4, v0
	v_and_b32_e32 v4, 0x7f800000, v0
	s_delay_alu instid0(VALU_DEP_1) | instskip(NEXT) | instid1(VALU_DEP_1)
	v_cmp_ne_u32_e64 s0, 0x7f800000, v4
	s_and_saveexec_b32 s2, s0
	s_delay_alu instid0(SALU_CYCLE_1)
	s_xor_b32 s0, exec_lo, s2
; %bb.84:                               ;   in Loop: Header=BB29_9 Depth=1
	v_bfe_u32 v4, v0, 16, 1
	s_delay_alu instid0(VALU_DEP_1)
	v_add3_u32 v32, v0, v4, 0x7fff
                                        ; implicit-def: $vgpr0
; %bb.85:                               ;   in Loop: Header=BB29_9 Depth=1
	s_and_not1_saveexec_b32 s2, s0
; %bb.86:                               ;   in Loop: Header=BB29_9 Depth=1
	v_and_b32_e32 v4, 0xffff, v0
	v_or_b32_e32 v5, 0x10000, v0
	s_delay_alu instid0(VALU_DEP_2) | instskip(NEXT) | instid1(VALU_DEP_1)
	v_cmp_eq_u32_e64 s0, 0, v4
	v_cndmask_b32_e64 v32, v5, v0, s0
; %bb.87:                               ;   in Loop: Header=BB29_9 Depth=1
	s_or_b32 exec_lo, exec_lo, s2
	v_lshrrev_b16 v0, 4, v1
                                        ; implicit-def: $vgpr38
	s_delay_alu instid0(VALU_DEP_1) | instskip(NEXT) | instid1(VALU_DEP_1)
	v_and_b32_e32 v0, 15, v0
	v_and_b32_e32 v0, 0xffff, v0
	s_delay_alu instid0(VALU_DEP_1) | instskip(SKIP_3) | instid1(VALU_DEP_1)
	v_lshlrev_b32_e32 v0, 1, v0
	ds_load_u16 v0, v0
	s_waitcnt lgkmcnt(0)
	v_lshlrev_b32_e32 v0, 16, v0
	v_mul_f32_e32 v0, v26, v0
	s_delay_alu instid0(VALU_DEP_1) | instskip(NEXT) | instid1(VALU_DEP_1)
	v_and_b32_e32 v4, 0x7f800000, v0
	v_cmp_ne_u32_e64 s0, 0x7f800000, v4
	s_delay_alu instid0(VALU_DEP_1) | instskip(NEXT) | instid1(SALU_CYCLE_1)
	s_and_saveexec_b32 s2, s0
	s_xor_b32 s0, exec_lo, s2
; %bb.88:                               ;   in Loop: Header=BB29_9 Depth=1
	v_bfe_u32 v4, v0, 16, 1
	s_delay_alu instid0(VALU_DEP_1)
	v_add3_u32 v38, v0, v4, 0x7fff
                                        ; implicit-def: $vgpr0
; %bb.89:                               ;   in Loop: Header=BB29_9 Depth=1
	s_and_not1_saveexec_b32 s2, s0
; %bb.90:                               ;   in Loop: Header=BB29_9 Depth=1
	v_and_b32_e32 v4, 0xffff, v0
	v_or_b32_e32 v5, 0x10000, v0
	s_delay_alu instid0(VALU_DEP_2) | instskip(NEXT) | instid1(VALU_DEP_1)
	v_cmp_eq_u32_e64 s0, 0, v4
	v_cndmask_b32_e64 v38, v5, v0, s0
; %bb.91:                               ;   in Loop: Header=BB29_9 Depth=1
	s_or_b32 exec_lo, exec_lo, s2
	v_and_b32_e32 v0, 15, v1
                                        ; implicit-def: $vgpr39
	s_delay_alu instid0(VALU_DEP_1) | instskip(SKIP_3) | instid1(VALU_DEP_1)
	v_lshlrev_b32_e32 v0, 1, v0
	ds_load_u16 v0, v0
	s_waitcnt lgkmcnt(0)
	v_lshlrev_b32_e32 v0, 16, v0
	v_mul_f32_e32 v0, v26, v0
	s_delay_alu instid0(VALU_DEP_1) | instskip(NEXT) | instid1(VALU_DEP_1)
	v_and_b32_e32 v1, 0x7f800000, v0
	v_cmp_ne_u32_e64 s0, 0x7f800000, v1
	s_delay_alu instid0(VALU_DEP_1) | instskip(NEXT) | instid1(SALU_CYCLE_1)
	s_and_saveexec_b32 s2, s0
	s_xor_b32 s0, exec_lo, s2
; %bb.92:                               ;   in Loop: Header=BB29_9 Depth=1
	v_bfe_u32 v1, v0, 16, 1
	s_delay_alu instid0(VALU_DEP_1)
	v_add3_u32 v39, v0, v1, 0x7fff
                                        ; implicit-def: $vgpr0
; %bb.93:                               ;   in Loop: Header=BB29_9 Depth=1
	s_and_not1_saveexec_b32 s2, s0
; %bb.94:                               ;   in Loop: Header=BB29_9 Depth=1
	v_and_b32_e32 v1, 0xffff, v0
	v_or_b32_e32 v4, 0x10000, v0
	s_delay_alu instid0(VALU_DEP_2) | instskip(NEXT) | instid1(VALU_DEP_1)
	v_cmp_eq_u32_e64 s0, 0, v1
	v_cndmask_b32_e64 v39, v4, v0, s0
; %bb.95:                               ;   in Loop: Header=BB29_9 Depth=1
	s_or_b32 exec_lo, exec_lo, s2
	v_lshrrev_b16 v0, 4, v37
                                        ; implicit-def: $vgpr40
	s_delay_alu instid0(VALU_DEP_1) | instskip(NEXT) | instid1(VALU_DEP_1)
	v_and_b32_e32 v0, 15, v0
	v_and_b32_e32 v0, 0xffff, v0
	s_delay_alu instid0(VALU_DEP_1) | instskip(SKIP_3) | instid1(VALU_DEP_1)
	v_lshlrev_b32_e32 v0, 1, v0
	ds_load_u16 v0, v0
	s_waitcnt lgkmcnt(0)
	v_lshlrev_b32_e32 v0, 16, v0
	v_mul_f32_e32 v0, v26, v0
	s_delay_alu instid0(VALU_DEP_1) | instskip(NEXT) | instid1(VALU_DEP_1)
	v_and_b32_e32 v1, 0x7f800000, v0
	v_cmp_ne_u32_e64 s0, 0x7f800000, v1
	s_delay_alu instid0(VALU_DEP_1) | instskip(NEXT) | instid1(SALU_CYCLE_1)
	s_and_saveexec_b32 s2, s0
	s_xor_b32 s0, exec_lo, s2
; %bb.96:                               ;   in Loop: Header=BB29_9 Depth=1
	v_bfe_u32 v1, v0, 16, 1
	s_delay_alu instid0(VALU_DEP_1)
	v_add3_u32 v40, v0, v1, 0x7fff
                                        ; implicit-def: $vgpr0
; %bb.97:                               ;   in Loop: Header=BB29_9 Depth=1
	s_and_not1_saveexec_b32 s2, s0
; %bb.98:                               ;   in Loop: Header=BB29_9 Depth=1
	v_and_b32_e32 v1, 0xffff, v0
	v_or_b32_e32 v4, 0x10000, v0
	s_delay_alu instid0(VALU_DEP_2) | instskip(NEXT) | instid1(VALU_DEP_1)
	v_cmp_eq_u32_e64 s0, 0, v1
	v_cndmask_b32_e64 v40, v4, v0, s0
; %bb.99:                               ;   in Loop: Header=BB29_9 Depth=1
	s_or_b32 exec_lo, exec_lo, s2
	v_and_b32_e32 v0, 15, v37
                                        ; implicit-def: $vgpr41
	s_delay_alu instid0(VALU_DEP_1) | instskip(SKIP_3) | instid1(VALU_DEP_1)
	v_lshlrev_b32_e32 v0, 1, v0
	ds_load_u16 v0, v0
	s_waitcnt lgkmcnt(0)
	v_lshlrev_b32_e32 v0, 16, v0
	v_mul_f32_e32 v0, v26, v0
	s_delay_alu instid0(VALU_DEP_1) | instskip(NEXT) | instid1(VALU_DEP_1)
	v_and_b32_e32 v1, 0x7f800000, v0
	v_cmp_ne_u32_e64 s0, 0x7f800000, v1
	s_delay_alu instid0(VALU_DEP_1) | instskip(NEXT) | instid1(SALU_CYCLE_1)
	s_and_saveexec_b32 s2, s0
	s_xor_b32 s0, exec_lo, s2
; %bb.100:                              ;   in Loop: Header=BB29_9 Depth=1
	v_bfe_u32 v1, v0, 16, 1
	s_delay_alu instid0(VALU_DEP_1)
	v_add3_u32 v41, v0, v1, 0x7fff
                                        ; implicit-def: $vgpr0
; %bb.101:                              ;   in Loop: Header=BB29_9 Depth=1
	s_and_not1_saveexec_b32 s2, s0
; %bb.102:                              ;   in Loop: Header=BB29_9 Depth=1
	v_and_b32_e32 v1, 0xffff, v0
	v_or_b32_e32 v4, 0x10000, v0
	s_delay_alu instid0(VALU_DEP_2) | instskip(NEXT) | instid1(VALU_DEP_1)
	v_cmp_eq_u32_e64 s0, 0, v1
	v_cndmask_b32_e64 v41, v4, v0, s0
; %bb.103:                              ;   in Loop: Header=BB29_9 Depth=1
	s_or_b32 exec_lo, exec_lo, s2
	v_lshrrev_b16 v0, 4, v36
                                        ; implicit-def: $vgpr42
	s_delay_alu instid0(VALU_DEP_1) | instskip(NEXT) | instid1(VALU_DEP_1)
	v_and_b32_e32 v0, 15, v0
	v_and_b32_e32 v0, 0xffff, v0
	s_delay_alu instid0(VALU_DEP_1) | instskip(SKIP_3) | instid1(VALU_DEP_1)
	v_lshlrev_b32_e32 v0, 1, v0
	ds_load_u16 v0, v0
	s_waitcnt lgkmcnt(0)
	v_lshlrev_b32_e32 v0, 16, v0
	v_mul_f32_e32 v0, v26, v0
	s_delay_alu instid0(VALU_DEP_1) | instskip(NEXT) | instid1(VALU_DEP_1)
	v_and_b32_e32 v1, 0x7f800000, v0
	v_cmp_ne_u32_e64 s0, 0x7f800000, v1
	s_delay_alu instid0(VALU_DEP_1) | instskip(NEXT) | instid1(SALU_CYCLE_1)
	s_and_saveexec_b32 s2, s0
	s_xor_b32 s0, exec_lo, s2
; %bb.104:                              ;   in Loop: Header=BB29_9 Depth=1
	v_bfe_u32 v1, v0, 16, 1
	s_delay_alu instid0(VALU_DEP_1)
	v_add3_u32 v42, v0, v1, 0x7fff
                                        ; implicit-def: $vgpr0
; %bb.105:                              ;   in Loop: Header=BB29_9 Depth=1
	s_and_not1_saveexec_b32 s2, s0
; %bb.106:                              ;   in Loop: Header=BB29_9 Depth=1
	v_and_b32_e32 v1, 0xffff, v0
	v_or_b32_e32 v4, 0x10000, v0
	s_delay_alu instid0(VALU_DEP_2) | instskip(NEXT) | instid1(VALU_DEP_1)
	v_cmp_eq_u32_e64 s0, 0, v1
	v_cndmask_b32_e64 v42, v4, v0, s0
; %bb.107:                              ;   in Loop: Header=BB29_9 Depth=1
	s_or_b32 exec_lo, exec_lo, s2
	v_and_b32_e32 v0, 15, v36
                                        ; implicit-def: $vgpr43
	s_delay_alu instid0(VALU_DEP_1) | instskip(SKIP_3) | instid1(VALU_DEP_1)
	v_lshlrev_b32_e32 v0, 1, v0
	ds_load_u16 v0, v0
	s_waitcnt lgkmcnt(0)
	v_lshlrev_b32_e32 v0, 16, v0
	v_mul_f32_e32 v0, v26, v0
	s_delay_alu instid0(VALU_DEP_1) | instskip(NEXT) | instid1(VALU_DEP_1)
	v_and_b32_e32 v1, 0x7f800000, v0
	v_cmp_ne_u32_e64 s0, 0x7f800000, v1
	s_delay_alu instid0(VALU_DEP_1) | instskip(NEXT) | instid1(SALU_CYCLE_1)
	s_and_saveexec_b32 s2, s0
	s_xor_b32 s0, exec_lo, s2
; %bb.108:                              ;   in Loop: Header=BB29_9 Depth=1
	v_bfe_u32 v1, v0, 16, 1
	s_delay_alu instid0(VALU_DEP_1)
	v_add3_u32 v43, v0, v1, 0x7fff
                                        ; implicit-def: $vgpr0
; %bb.109:                              ;   in Loop: Header=BB29_9 Depth=1
	s_and_not1_saveexec_b32 s2, s0
; %bb.110:                              ;   in Loop: Header=BB29_9 Depth=1
	v_and_b32_e32 v1, 0xffff, v0
	v_or_b32_e32 v4, 0x10000, v0
	s_delay_alu instid0(VALU_DEP_2) | instskip(NEXT) | instid1(VALU_DEP_1)
	v_cmp_eq_u32_e64 s0, 0, v1
	v_cndmask_b32_e64 v43, v4, v0, s0
; %bb.111:                              ;   in Loop: Header=BB29_9 Depth=1
	s_or_b32 exec_lo, exec_lo, s2
	v_lshrrev_b16 v0, 4, v35
                                        ; implicit-def: $vgpr44
	s_delay_alu instid0(VALU_DEP_1) | instskip(NEXT) | instid1(VALU_DEP_1)
	v_and_b32_e32 v0, 15, v0
	v_and_b32_e32 v0, 0xffff, v0
	s_delay_alu instid0(VALU_DEP_1) | instskip(SKIP_3) | instid1(VALU_DEP_1)
	v_lshlrev_b32_e32 v0, 1, v0
	ds_load_u16 v0, v0
	s_waitcnt lgkmcnt(0)
	v_lshlrev_b32_e32 v0, 16, v0
	v_mul_f32_e32 v0, v26, v0
	s_delay_alu instid0(VALU_DEP_1) | instskip(NEXT) | instid1(VALU_DEP_1)
	v_and_b32_e32 v1, 0x7f800000, v0
	v_cmp_ne_u32_e64 s0, 0x7f800000, v1
	s_delay_alu instid0(VALU_DEP_1) | instskip(NEXT) | instid1(SALU_CYCLE_1)
	s_and_saveexec_b32 s2, s0
	s_xor_b32 s0, exec_lo, s2
; %bb.112:                              ;   in Loop: Header=BB29_9 Depth=1
	v_bfe_u32 v1, v0, 16, 1
	s_delay_alu instid0(VALU_DEP_1)
	v_add3_u32 v44, v0, v1, 0x7fff
                                        ; implicit-def: $vgpr0
; %bb.113:                              ;   in Loop: Header=BB29_9 Depth=1
	s_and_not1_saveexec_b32 s2, s0
; %bb.114:                              ;   in Loop: Header=BB29_9 Depth=1
	v_and_b32_e32 v1, 0xffff, v0
	v_or_b32_e32 v4, 0x10000, v0
	s_delay_alu instid0(VALU_DEP_2) | instskip(NEXT) | instid1(VALU_DEP_1)
	v_cmp_eq_u32_e64 s0, 0, v1
	v_cndmask_b32_e64 v44, v4, v0, s0
; %bb.115:                              ;   in Loop: Header=BB29_9 Depth=1
	s_or_b32 exec_lo, exec_lo, s2
	v_and_b32_e32 v0, 15, v35
                                        ; implicit-def: $vgpr45
	s_delay_alu instid0(VALU_DEP_1) | instskip(SKIP_3) | instid1(VALU_DEP_1)
	v_lshlrev_b32_e32 v0, 1, v0
	ds_load_u16 v0, v0
	s_waitcnt lgkmcnt(0)
	v_lshlrev_b32_e32 v0, 16, v0
	v_mul_f32_e32 v0, v26, v0
	s_delay_alu instid0(VALU_DEP_1) | instskip(NEXT) | instid1(VALU_DEP_1)
	v_and_b32_e32 v1, 0x7f800000, v0
	v_cmp_ne_u32_e64 s0, 0x7f800000, v1
	s_delay_alu instid0(VALU_DEP_1) | instskip(NEXT) | instid1(SALU_CYCLE_1)
	s_and_saveexec_b32 s2, s0
	s_xor_b32 s0, exec_lo, s2
; %bb.116:                              ;   in Loop: Header=BB29_9 Depth=1
	v_bfe_u32 v1, v0, 16, 1
	s_delay_alu instid0(VALU_DEP_1)
	v_add3_u32 v45, v0, v1, 0x7fff
                                        ; implicit-def: $vgpr0
; %bb.117:                              ;   in Loop: Header=BB29_9 Depth=1
	s_and_not1_saveexec_b32 s2, s0
; %bb.118:                              ;   in Loop: Header=BB29_9 Depth=1
	v_and_b32_e32 v1, 0xffff, v0
	v_or_b32_e32 v4, 0x10000, v0
	s_delay_alu instid0(VALU_DEP_2) | instskip(NEXT) | instid1(VALU_DEP_1)
	v_cmp_eq_u32_e64 s0, 0, v1
	v_cndmask_b32_e64 v45, v4, v0, s0
; %bb.119:                              ;   in Loop: Header=BB29_9 Depth=1
	s_or_b32 exec_lo, exec_lo, s2
	v_add_nc_u32_e32 v0, -16, v19
	s_mov_b32 s56, 0
                                        ; implicit-def: $vgpr4
                                        ; implicit-def: $vgpr36
                                        ; implicit-def: $vgpr47
                                        ; implicit-def: $vgpr46
                                        ; implicit-def: $sgpr55
	s_delay_alu instid0(VALU_DEP_1) | instskip(SKIP_1) | instid1(VALU_DEP_1)
	v_cmp_gt_i32_e64 s0, s8, v0
	v_cmp_le_i32_e64 s2, s8, v0
                                        ; implicit-def: $vgpr0_vgpr1
	s_and_saveexec_b32 s57, s2
	s_delay_alu instid0(SALU_CYCLE_1)
	s_xor_b32 s2, exec_lo, s57
	s_cbranch_execnz .LBB29_323
; %bb.120:                              ;   in Loop: Header=BB29_9 Depth=1
	s_and_not1_saveexec_b32 s2, s2
	s_cbranch_execnz .LBB29_340
.LBB29_121:                             ;   in Loop: Header=BB29_9 Depth=1
	s_or_b32 exec_lo, exec_lo, s2
	v_mov_b32_e32 v48, s55
	s_and_saveexec_b32 s1, s56
	s_cbranch_execz .LBB29_123
.LBB29_122:                             ;   in Loop: Header=BB29_9 Depth=1
	global_load_u16 v48, v[0:1], off
.LBB29_123:                             ;   in Loop: Header=BB29_9 Depth=1
	s_or_b32 exec_lo, exec_lo, s1
	v_and_b32_e32 v0, 0xffff0000, v38
	s_waitcnt vmcnt(0)
	v_lshlrev_b32_e32 v1, 16, v4
                                        ; implicit-def: $vgpr35
	s_delay_alu instid0(VALU_DEP_1) | instskip(NEXT) | instid1(VALU_DEP_1)
	v_mul_f32_e32 v0, v1, v0
	v_and_b32_e32 v1, 0x7f800000, v0
	s_delay_alu instid0(VALU_DEP_1) | instskip(NEXT) | instid1(VALU_DEP_1)
	v_cmp_ne_u32_e64 s1, 0x7f800000, v1
	s_and_saveexec_b32 s2, s1
	s_delay_alu instid0(SALU_CYCLE_1)
	s_xor_b32 s1, exec_lo, s2
; %bb.124:                              ;   in Loop: Header=BB29_9 Depth=1
	v_bfe_u32 v1, v0, 16, 1
	s_delay_alu instid0(VALU_DEP_1)
	v_add3_u32 v35, v0, v1, 0x7fff
                                        ; implicit-def: $vgpr0
; %bb.125:                              ;   in Loop: Header=BB29_9 Depth=1
	s_and_not1_saveexec_b32 s2, s1
; %bb.126:                              ;   in Loop: Header=BB29_9 Depth=1
	v_and_b32_e32 v1, 0xffff, v0
	v_or_b32_e32 v4, 0x10000, v0
	s_delay_alu instid0(VALU_DEP_2) | instskip(NEXT) | instid1(VALU_DEP_1)
	v_cmp_eq_u32_e64 s1, 0, v1
	v_cndmask_b32_e64 v35, v4, v0, s1
; %bb.127:                              ;   in Loop: Header=BB29_9 Depth=1
	s_or_b32 exec_lo, exec_lo, s2
	v_and_b32_e32 v0, 0xffff0000, v39
	v_lshlrev_b32_e32 v1, 16, v36
                                        ; implicit-def: $vgpr36
	s_delay_alu instid0(VALU_DEP_1) | instskip(NEXT) | instid1(VALU_DEP_1)
	v_mul_f32_e32 v0, v1, v0
	v_and_b32_e32 v1, 0x7f800000, v0
	s_delay_alu instid0(VALU_DEP_1) | instskip(NEXT) | instid1(VALU_DEP_1)
	v_cmp_ne_u32_e64 s1, 0x7f800000, v1
	s_and_saveexec_b32 s2, s1
	s_delay_alu instid0(SALU_CYCLE_1)
	s_xor_b32 s1, exec_lo, s2
; %bb.128:                              ;   in Loop: Header=BB29_9 Depth=1
	v_bfe_u32 v1, v0, 16, 1
	s_delay_alu instid0(VALU_DEP_1)
	v_add3_u32 v36, v0, v1, 0x7fff
                                        ; implicit-def: $vgpr0
; %bb.129:                              ;   in Loop: Header=BB29_9 Depth=1
	s_and_not1_saveexec_b32 s2, s1
; %bb.130:                              ;   in Loop: Header=BB29_9 Depth=1
	v_and_b32_e32 v1, 0xffff, v0
	v_or_b32_e32 v4, 0x10000, v0
	s_delay_alu instid0(VALU_DEP_2) | instskip(NEXT) | instid1(VALU_DEP_1)
	v_cmp_eq_u32_e64 s1, 0, v1
	v_cndmask_b32_e64 v36, v4, v0, s1
; %bb.131:                              ;   in Loop: Header=BB29_9 Depth=1
	s_or_b32 exec_lo, exec_lo, s2
	v_and_b32_e32 v0, 0xffff0000, v40
	v_lshlrev_b32_e32 v1, 16, v5
                                        ; implicit-def: $vgpr37
	s_delay_alu instid0(VALU_DEP_1) | instskip(NEXT) | instid1(VALU_DEP_1)
	v_mul_f32_e32 v0, v1, v0
	v_and_b32_e32 v1, 0x7f800000, v0
	s_delay_alu instid0(VALU_DEP_1) | instskip(NEXT) | instid1(VALU_DEP_1)
	v_cmp_ne_u32_e64 s1, 0x7f800000, v1
	s_and_saveexec_b32 s2, s1
	s_delay_alu instid0(SALU_CYCLE_1)
	s_xor_b32 s1, exec_lo, s2
; %bb.132:                              ;   in Loop: Header=BB29_9 Depth=1
	v_bfe_u32 v1, v0, 16, 1
	s_delay_alu instid0(VALU_DEP_1)
	v_add3_u32 v37, v0, v1, 0x7fff
                                        ; implicit-def: $vgpr0
; %bb.133:                              ;   in Loop: Header=BB29_9 Depth=1
	s_and_not1_saveexec_b32 s2, s1
; %bb.134:                              ;   in Loop: Header=BB29_9 Depth=1
	v_and_b32_e32 v1, 0xffff, v0
	v_or_b32_e32 v4, 0x10000, v0
	s_delay_alu instid0(VALU_DEP_2) | instskip(NEXT) | instid1(VALU_DEP_1)
	v_cmp_eq_u32_e64 s1, 0, v1
	v_cndmask_b32_e64 v37, v4, v0, s1
; %bb.135:                              ;   in Loop: Header=BB29_9 Depth=1
	s_or_b32 exec_lo, exec_lo, s2
	v_and_b32_e32 v0, 0xffff0000, v41
	v_lshlrev_b32_e32 v1, 16, v47
                                        ; implicit-def: $vgpr38
	s_delay_alu instid0(VALU_DEP_1) | instskip(NEXT) | instid1(VALU_DEP_1)
	v_mul_f32_e32 v0, v1, v0
	v_and_b32_e32 v1, 0x7f800000, v0
	s_delay_alu instid0(VALU_DEP_1) | instskip(NEXT) | instid1(VALU_DEP_1)
	v_cmp_ne_u32_e64 s1, 0x7f800000, v1
	s_and_saveexec_b32 s2, s1
	s_delay_alu instid0(SALU_CYCLE_1)
	s_xor_b32 s1, exec_lo, s2
; %bb.136:                              ;   in Loop: Header=BB29_9 Depth=1
	v_bfe_u32 v1, v0, 16, 1
	s_delay_alu instid0(VALU_DEP_1)
	v_add3_u32 v38, v0, v1, 0x7fff
                                        ; implicit-def: $vgpr0
; %bb.137:                              ;   in Loop: Header=BB29_9 Depth=1
	s_and_not1_saveexec_b32 s2, s1
; %bb.138:                              ;   in Loop: Header=BB29_9 Depth=1
	v_and_b32_e32 v1, 0xffff, v0
	v_or_b32_e32 v4, 0x10000, v0
	s_delay_alu instid0(VALU_DEP_2) | instskip(NEXT) | instid1(VALU_DEP_1)
	v_cmp_eq_u32_e64 s1, 0, v1
	v_cndmask_b32_e64 v38, v4, v0, s1
; %bb.139:                              ;   in Loop: Header=BB29_9 Depth=1
	s_or_b32 exec_lo, exec_lo, s2
	v_and_b32_e32 v0, 0xffff0000, v42
	v_lshlrev_b32_e32 v1, 16, v6
                                        ; implicit-def: $vgpr39
	s_delay_alu instid0(VALU_DEP_1) | instskip(NEXT) | instid1(VALU_DEP_1)
	v_mul_f32_e32 v0, v1, v0
	v_and_b32_e32 v1, 0x7f800000, v0
	s_delay_alu instid0(VALU_DEP_1) | instskip(NEXT) | instid1(VALU_DEP_1)
	v_cmp_ne_u32_e64 s1, 0x7f800000, v1
	s_and_saveexec_b32 s2, s1
	s_delay_alu instid0(SALU_CYCLE_1)
	s_xor_b32 s1, exec_lo, s2
; %bb.140:                              ;   in Loop: Header=BB29_9 Depth=1
	v_bfe_u32 v1, v0, 16, 1
	s_delay_alu instid0(VALU_DEP_1)
	v_add3_u32 v39, v0, v1, 0x7fff
                                        ; implicit-def: $vgpr0
; %bb.141:                              ;   in Loop: Header=BB29_9 Depth=1
	s_and_not1_saveexec_b32 s2, s1
; %bb.142:                              ;   in Loop: Header=BB29_9 Depth=1
	v_and_b32_e32 v1, 0xffff, v0
	v_or_b32_e32 v4, 0x10000, v0
	s_delay_alu instid0(VALU_DEP_2) | instskip(NEXT) | instid1(VALU_DEP_1)
	v_cmp_eq_u32_e64 s1, 0, v1
	v_cndmask_b32_e64 v39, v4, v0, s1
; %bb.143:                              ;   in Loop: Header=BB29_9 Depth=1
	s_or_b32 exec_lo, exec_lo, s2
	v_and_b32_e32 v0, 0xffff0000, v43
	v_lshlrev_b32_e32 v1, 16, v46
                                        ; implicit-def: $vgpr40
	s_delay_alu instid0(VALU_DEP_1) | instskip(NEXT) | instid1(VALU_DEP_1)
	v_mul_f32_e32 v0, v1, v0
	v_and_b32_e32 v1, 0x7f800000, v0
	s_delay_alu instid0(VALU_DEP_1) | instskip(NEXT) | instid1(VALU_DEP_1)
	v_cmp_ne_u32_e64 s1, 0x7f800000, v1
	s_and_saveexec_b32 s2, s1
	s_delay_alu instid0(SALU_CYCLE_1)
	s_xor_b32 s1, exec_lo, s2
; %bb.144:                              ;   in Loop: Header=BB29_9 Depth=1
	v_bfe_u32 v1, v0, 16, 1
	s_delay_alu instid0(VALU_DEP_1)
	v_add3_u32 v40, v0, v1, 0x7fff
                                        ; implicit-def: $vgpr0
; %bb.145:                              ;   in Loop: Header=BB29_9 Depth=1
	s_and_not1_saveexec_b32 s2, s1
; %bb.146:                              ;   in Loop: Header=BB29_9 Depth=1
	v_and_b32_e32 v1, 0xffff, v0
	v_or_b32_e32 v4, 0x10000, v0
	s_delay_alu instid0(VALU_DEP_2) | instskip(NEXT) | instid1(VALU_DEP_1)
	v_cmp_eq_u32_e64 s1, 0, v1
	v_cndmask_b32_e64 v40, v4, v0, s1
; %bb.147:                              ;   in Loop: Header=BB29_9 Depth=1
	s_or_b32 exec_lo, exec_lo, s2
	v_and_b32_e32 v0, 0xffff0000, v44
	v_lshlrev_b32_e32 v1, 16, v7
                                        ; implicit-def: $vgpr41
	s_delay_alu instid0(VALU_DEP_1) | instskip(NEXT) | instid1(VALU_DEP_1)
	v_mul_f32_e32 v0, v1, v0
	v_and_b32_e32 v1, 0x7f800000, v0
	s_delay_alu instid0(VALU_DEP_1) | instskip(NEXT) | instid1(VALU_DEP_1)
	v_cmp_ne_u32_e64 s1, 0x7f800000, v1
	s_and_saveexec_b32 s2, s1
	s_delay_alu instid0(SALU_CYCLE_1)
	s_xor_b32 s1, exec_lo, s2
; %bb.148:                              ;   in Loop: Header=BB29_9 Depth=1
	v_bfe_u32 v1, v0, 16, 1
	s_delay_alu instid0(VALU_DEP_1)
	v_add3_u32 v41, v0, v1, 0x7fff
                                        ; implicit-def: $vgpr0
; %bb.149:                              ;   in Loop: Header=BB29_9 Depth=1
	s_and_not1_saveexec_b32 s2, s1
; %bb.150:                              ;   in Loop: Header=BB29_9 Depth=1
	v_and_b32_e32 v1, 0xffff, v0
	v_or_b32_e32 v4, 0x10000, v0
	s_delay_alu instid0(VALU_DEP_2) | instskip(NEXT) | instid1(VALU_DEP_1)
	v_cmp_eq_u32_e64 s1, 0, v1
	v_cndmask_b32_e64 v41, v4, v0, s1
; %bb.151:                              ;   in Loop: Header=BB29_9 Depth=1
	s_or_b32 exec_lo, exec_lo, s2
	v_and_b32_e32 v0, 0xffff0000, v45
	v_lshlrev_b32_e32 v1, 16, v48
                                        ; implicit-def: $vgpr42
	s_delay_alu instid0(VALU_DEP_1) | instskip(NEXT) | instid1(VALU_DEP_1)
	v_mul_f32_e32 v0, v1, v0
	v_and_b32_e32 v1, 0x7f800000, v0
	s_delay_alu instid0(VALU_DEP_1) | instskip(NEXT) | instid1(VALU_DEP_1)
	v_cmp_ne_u32_e64 s1, 0x7f800000, v1
	s_and_saveexec_b32 s2, s1
	s_delay_alu instid0(SALU_CYCLE_1)
	s_xor_b32 s1, exec_lo, s2
; %bb.152:                              ;   in Loop: Header=BB29_9 Depth=1
	v_bfe_u32 v1, v0, 16, 1
	s_delay_alu instid0(VALU_DEP_1)
	v_add3_u32 v42, v0, v1, 0x7fff
                                        ; implicit-def: $vgpr0
; %bb.153:                              ;   in Loop: Header=BB29_9 Depth=1
	s_and_not1_saveexec_b32 s2, s1
; %bb.154:                              ;   in Loop: Header=BB29_9 Depth=1
	v_and_b32_e32 v1, 0xffff, v0
	v_or_b32_e32 v4, 0x10000, v0
	s_delay_alu instid0(VALU_DEP_2) | instskip(NEXT) | instid1(VALU_DEP_1)
	v_cmp_eq_u32_e64 s1, 0, v1
	v_cndmask_b32_e64 v42, v4, v0, s1
; %bb.155:                              ;   in Loop: Header=BB29_9 Depth=1
	s_or_b32 exec_lo, exec_lo, s2
	v_lshrrev_b16 v0, 4, v2
                                        ; implicit-def: $vgpr43
	s_delay_alu instid0(VALU_DEP_1) | instskip(NEXT) | instid1(VALU_DEP_1)
	v_and_b32_e32 v0, 15, v0
	v_and_b32_e32 v0, 0xffff, v0
	s_delay_alu instid0(VALU_DEP_1) | instskip(SKIP_3) | instid1(VALU_DEP_1)
	v_lshlrev_b32_e32 v0, 1, v0
	ds_load_u16 v0, v0
	s_waitcnt lgkmcnt(0)
	v_lshlrev_b32_e32 v0, 16, v0
	v_mul_f32_e32 v0, v26, v0
	s_delay_alu instid0(VALU_DEP_1) | instskip(NEXT) | instid1(VALU_DEP_1)
	v_and_b32_e32 v1, 0x7f800000, v0
	v_cmp_ne_u32_e64 s1, 0x7f800000, v1
	s_delay_alu instid0(VALU_DEP_1) | instskip(NEXT) | instid1(SALU_CYCLE_1)
	s_and_saveexec_b32 s2, s1
	s_xor_b32 s1, exec_lo, s2
; %bb.156:                              ;   in Loop: Header=BB29_9 Depth=1
	v_bfe_u32 v1, v0, 16, 1
	s_delay_alu instid0(VALU_DEP_1)
	v_add3_u32 v43, v0, v1, 0x7fff
                                        ; implicit-def: $vgpr0
; %bb.157:                              ;   in Loop: Header=BB29_9 Depth=1
	s_and_not1_saveexec_b32 s2, s1
; %bb.158:                              ;   in Loop: Header=BB29_9 Depth=1
	v_and_b32_e32 v1, 0xffff, v0
	v_or_b32_e32 v4, 0x10000, v0
	s_delay_alu instid0(VALU_DEP_2) | instskip(NEXT) | instid1(VALU_DEP_1)
	v_cmp_eq_u32_e64 s1, 0, v1
	v_cndmask_b32_e64 v43, v4, v0, s1
; %bb.159:                              ;   in Loop: Header=BB29_9 Depth=1
	s_or_b32 exec_lo, exec_lo, s2
	v_and_b32_e32 v0, 15, v2
                                        ; implicit-def: $vgpr2
	s_delay_alu instid0(VALU_DEP_1) | instskip(SKIP_3) | instid1(VALU_DEP_1)
	v_lshlrev_b32_e32 v0, 1, v0
	ds_load_u16 v0, v0
	s_waitcnt lgkmcnt(0)
	v_lshlrev_b32_e32 v0, 16, v0
	v_mul_f32_e32 v0, v26, v0
	s_delay_alu instid0(VALU_DEP_1) | instskip(NEXT) | instid1(VALU_DEP_1)
	v_and_b32_e32 v1, 0x7f800000, v0
	v_cmp_ne_u32_e64 s1, 0x7f800000, v1
	s_delay_alu instid0(VALU_DEP_1) | instskip(NEXT) | instid1(SALU_CYCLE_1)
	s_and_saveexec_b32 s2, s1
	s_xor_b32 s1, exec_lo, s2
; %bb.160:                              ;   in Loop: Header=BB29_9 Depth=1
	v_bfe_u32 v1, v0, 16, 1
	s_delay_alu instid0(VALU_DEP_1)
	v_add3_u32 v2, v0, v1, 0x7fff
                                        ; implicit-def: $vgpr0
; %bb.161:                              ;   in Loop: Header=BB29_9 Depth=1
	s_and_not1_saveexec_b32 s2, s1
; %bb.162:                              ;   in Loop: Header=BB29_9 Depth=1
	v_and_b32_e32 v1, 0xffff, v0
	v_or_b32_e32 v2, 0x10000, v0
	s_delay_alu instid0(VALU_DEP_2) | instskip(NEXT) | instid1(VALU_DEP_1)
	v_cmp_eq_u32_e64 s1, 0, v1
	v_cndmask_b32_e64 v2, v2, v0, s1
; %bb.163:                              ;   in Loop: Header=BB29_9 Depth=1
	s_or_b32 exec_lo, exec_lo, s2
	v_lshrrev_b16 v0, 4, v34
                                        ; implicit-def: $vgpr44
	s_delay_alu instid0(VALU_DEP_1) | instskip(NEXT) | instid1(VALU_DEP_1)
	v_and_b32_e32 v0, 15, v0
	v_and_b32_e32 v0, 0xffff, v0
	s_delay_alu instid0(VALU_DEP_1) | instskip(SKIP_3) | instid1(VALU_DEP_1)
	v_lshlrev_b32_e32 v0, 1, v0
	ds_load_u16 v0, v0
	s_waitcnt lgkmcnt(0)
	v_lshlrev_b32_e32 v0, 16, v0
	v_mul_f32_e32 v0, v26, v0
	s_delay_alu instid0(VALU_DEP_1) | instskip(NEXT) | instid1(VALU_DEP_1)
	v_and_b32_e32 v1, 0x7f800000, v0
	v_cmp_ne_u32_e64 s1, 0x7f800000, v1
	s_delay_alu instid0(VALU_DEP_1) | instskip(NEXT) | instid1(SALU_CYCLE_1)
	s_and_saveexec_b32 s2, s1
	s_xor_b32 s1, exec_lo, s2
; %bb.164:                              ;   in Loop: Header=BB29_9 Depth=1
	v_bfe_u32 v1, v0, 16, 1
	s_delay_alu instid0(VALU_DEP_1)
	v_add3_u32 v44, v0, v1, 0x7fff
                                        ; implicit-def: $vgpr0
; %bb.165:                              ;   in Loop: Header=BB29_9 Depth=1
	s_and_not1_saveexec_b32 s2, s1
; %bb.166:                              ;   in Loop: Header=BB29_9 Depth=1
	v_and_b32_e32 v1, 0xffff, v0
	v_or_b32_e32 v4, 0x10000, v0
	s_delay_alu instid0(VALU_DEP_2) | instskip(NEXT) | instid1(VALU_DEP_1)
	v_cmp_eq_u32_e64 s1, 0, v1
	v_cndmask_b32_e64 v44, v4, v0, s1
; %bb.167:                              ;   in Loop: Header=BB29_9 Depth=1
	s_or_b32 exec_lo, exec_lo, s2
	v_and_b32_e32 v0, 15, v34
                                        ; implicit-def: $vgpr45
	s_delay_alu instid0(VALU_DEP_1) | instskip(SKIP_3) | instid1(VALU_DEP_1)
	v_lshlrev_b32_e32 v0, 1, v0
	ds_load_u16 v0, v0
	s_waitcnt lgkmcnt(0)
	v_lshlrev_b32_e32 v0, 16, v0
	v_mul_f32_e32 v0, v26, v0
	s_delay_alu instid0(VALU_DEP_1) | instskip(NEXT) | instid1(VALU_DEP_1)
	v_and_b32_e32 v1, 0x7f800000, v0
	v_cmp_ne_u32_e64 s1, 0x7f800000, v1
	s_delay_alu instid0(VALU_DEP_1) | instskip(NEXT) | instid1(SALU_CYCLE_1)
	s_and_saveexec_b32 s2, s1
	s_xor_b32 s1, exec_lo, s2
; %bb.168:                              ;   in Loop: Header=BB29_9 Depth=1
	v_bfe_u32 v1, v0, 16, 1
	s_delay_alu instid0(VALU_DEP_1)
	v_add3_u32 v45, v0, v1, 0x7fff
                                        ; implicit-def: $vgpr0
; %bb.169:                              ;   in Loop: Header=BB29_9 Depth=1
	s_and_not1_saveexec_b32 s2, s1
; %bb.170:                              ;   in Loop: Header=BB29_9 Depth=1
	v_and_b32_e32 v1, 0xffff, v0
	v_or_b32_e32 v4, 0x10000, v0
	s_delay_alu instid0(VALU_DEP_2) | instskip(NEXT) | instid1(VALU_DEP_1)
	v_cmp_eq_u32_e64 s1, 0, v1
	v_cndmask_b32_e64 v45, v4, v0, s1
; %bb.171:                              ;   in Loop: Header=BB29_9 Depth=1
	s_or_b32 exec_lo, exec_lo, s2
	v_lshrrev_b16 v0, 4, v33
                                        ; implicit-def: $vgpr46
	s_delay_alu instid0(VALU_DEP_1) | instskip(NEXT) | instid1(VALU_DEP_1)
	v_and_b32_e32 v0, 15, v0
	v_and_b32_e32 v0, 0xffff, v0
	s_delay_alu instid0(VALU_DEP_1) | instskip(SKIP_3) | instid1(VALU_DEP_1)
	v_lshlrev_b32_e32 v0, 1, v0
	ds_load_u16 v0, v0
	s_waitcnt lgkmcnt(0)
	v_lshlrev_b32_e32 v0, 16, v0
	v_mul_f32_e32 v0, v26, v0
	s_delay_alu instid0(VALU_DEP_1) | instskip(NEXT) | instid1(VALU_DEP_1)
	v_and_b32_e32 v1, 0x7f800000, v0
	v_cmp_ne_u32_e64 s1, 0x7f800000, v1
	s_delay_alu instid0(VALU_DEP_1) | instskip(NEXT) | instid1(SALU_CYCLE_1)
	s_and_saveexec_b32 s2, s1
	s_xor_b32 s1, exec_lo, s2
; %bb.172:                              ;   in Loop: Header=BB29_9 Depth=1
	v_bfe_u32 v1, v0, 16, 1
	s_delay_alu instid0(VALU_DEP_1)
	v_add3_u32 v46, v0, v1, 0x7fff
                                        ; implicit-def: $vgpr0
; %bb.173:                              ;   in Loop: Header=BB29_9 Depth=1
	s_and_not1_saveexec_b32 s2, s1
; %bb.174:                              ;   in Loop: Header=BB29_9 Depth=1
	v_and_b32_e32 v1, 0xffff, v0
	v_or_b32_e32 v4, 0x10000, v0
	s_delay_alu instid0(VALU_DEP_2) | instskip(NEXT) | instid1(VALU_DEP_1)
	v_cmp_eq_u32_e64 s1, 0, v1
	v_cndmask_b32_e64 v46, v4, v0, s1
; %bb.175:                              ;   in Loop: Header=BB29_9 Depth=1
	s_or_b32 exec_lo, exec_lo, s2
	v_and_b32_e32 v0, 15, v33
                                        ; implicit-def: $vgpr47
	s_delay_alu instid0(VALU_DEP_1) | instskip(SKIP_3) | instid1(VALU_DEP_1)
	v_lshlrev_b32_e32 v0, 1, v0
	ds_load_u16 v0, v0
	s_waitcnt lgkmcnt(0)
	v_lshlrev_b32_e32 v0, 16, v0
	v_mul_f32_e32 v0, v26, v0
	s_delay_alu instid0(VALU_DEP_1) | instskip(NEXT) | instid1(VALU_DEP_1)
	v_and_b32_e32 v1, 0x7f800000, v0
	v_cmp_ne_u32_e64 s1, 0x7f800000, v1
	s_delay_alu instid0(VALU_DEP_1) | instskip(NEXT) | instid1(SALU_CYCLE_1)
	s_and_saveexec_b32 s2, s1
	s_xor_b32 s1, exec_lo, s2
; %bb.176:                              ;   in Loop: Header=BB29_9 Depth=1
	v_bfe_u32 v1, v0, 16, 1
	s_delay_alu instid0(VALU_DEP_1)
	v_add3_u32 v47, v0, v1, 0x7fff
                                        ; implicit-def: $vgpr0
; %bb.177:                              ;   in Loop: Header=BB29_9 Depth=1
	s_and_not1_saveexec_b32 s2, s1
; %bb.178:                              ;   in Loop: Header=BB29_9 Depth=1
	v_and_b32_e32 v1, 0xffff, v0
	v_or_b32_e32 v4, 0x10000, v0
	s_delay_alu instid0(VALU_DEP_2) | instskip(NEXT) | instid1(VALU_DEP_1)
	v_cmp_eq_u32_e64 s1, 0, v1
	v_cndmask_b32_e64 v47, v4, v0, s1
; %bb.179:                              ;   in Loop: Header=BB29_9 Depth=1
	s_or_b32 exec_lo, exec_lo, s2
	v_lshrrev_b16 v0, 4, v13
                                        ; implicit-def: $vgpr48
	s_delay_alu instid0(VALU_DEP_1) | instskip(NEXT) | instid1(VALU_DEP_1)
	v_and_b32_e32 v0, 15, v0
	v_and_b32_e32 v0, 0xffff, v0
	s_delay_alu instid0(VALU_DEP_1) | instskip(SKIP_3) | instid1(VALU_DEP_1)
	v_lshlrev_b32_e32 v0, 1, v0
	ds_load_u16 v0, v0
	s_waitcnt lgkmcnt(0)
	v_lshlrev_b32_e32 v0, 16, v0
	v_mul_f32_e32 v0, v26, v0
	s_delay_alu instid0(VALU_DEP_1) | instskip(NEXT) | instid1(VALU_DEP_1)
	v_and_b32_e32 v1, 0x7f800000, v0
	v_cmp_ne_u32_e64 s1, 0x7f800000, v1
	s_delay_alu instid0(VALU_DEP_1) | instskip(NEXT) | instid1(SALU_CYCLE_1)
	s_and_saveexec_b32 s2, s1
	s_xor_b32 s1, exec_lo, s2
; %bb.180:                              ;   in Loop: Header=BB29_9 Depth=1
	v_bfe_u32 v1, v0, 16, 1
	s_delay_alu instid0(VALU_DEP_1)
	v_add3_u32 v48, v0, v1, 0x7fff
                                        ; implicit-def: $vgpr0
; %bb.181:                              ;   in Loop: Header=BB29_9 Depth=1
	s_and_not1_saveexec_b32 s2, s1
; %bb.182:                              ;   in Loop: Header=BB29_9 Depth=1
	v_and_b32_e32 v1, 0xffff, v0
	v_or_b32_e32 v4, 0x10000, v0
	s_delay_alu instid0(VALU_DEP_2) | instskip(NEXT) | instid1(VALU_DEP_1)
	v_cmp_eq_u32_e64 s1, 0, v1
	v_cndmask_b32_e64 v48, v4, v0, s1
; %bb.183:                              ;   in Loop: Header=BB29_9 Depth=1
	s_or_b32 exec_lo, exec_lo, s2
	v_and_b32_e32 v0, 15, v13
                                        ; implicit-def: $vgpr49
	s_delay_alu instid0(VALU_DEP_1) | instskip(SKIP_3) | instid1(VALU_DEP_1)
	v_lshlrev_b32_e32 v0, 1, v0
	ds_load_u16 v0, v0
	s_waitcnt lgkmcnt(0)
	v_lshlrev_b32_e32 v0, 16, v0
	v_mul_f32_e32 v0, v26, v0
	s_delay_alu instid0(VALU_DEP_1) | instskip(NEXT) | instid1(VALU_DEP_1)
	v_and_b32_e32 v1, 0x7f800000, v0
	v_cmp_ne_u32_e64 s1, 0x7f800000, v1
	s_delay_alu instid0(VALU_DEP_1) | instskip(NEXT) | instid1(SALU_CYCLE_1)
	s_and_saveexec_b32 s2, s1
	s_xor_b32 s1, exec_lo, s2
; %bb.184:                              ;   in Loop: Header=BB29_9 Depth=1
	v_bfe_u32 v1, v0, 16, 1
	s_delay_alu instid0(VALU_DEP_1)
	v_add3_u32 v49, v0, v1, 0x7fff
                                        ; implicit-def: $vgpr0
; %bb.185:                              ;   in Loop: Header=BB29_9 Depth=1
	s_and_not1_saveexec_b32 s2, s1
; %bb.186:                              ;   in Loop: Header=BB29_9 Depth=1
	v_and_b32_e32 v1, 0xffff, v0
	v_or_b32_e32 v4, 0x10000, v0
	s_delay_alu instid0(VALU_DEP_2) | instskip(NEXT) | instid1(VALU_DEP_1)
	v_cmp_eq_u32_e64 s1, 0, v1
	v_cndmask_b32_e64 v49, v4, v0, s1
; %bb.187:                              ;   in Loop: Header=BB29_9 Depth=1
	s_or_b32 exec_lo, exec_lo, s2
	v_add_nc_u32_e32 v0, -8, v19
	s_mov_b32 s56, 0
                                        ; implicit-def: $vgpr4
                                        ; implicit-def: $vgpr33
                                        ; implicit-def: $vgpr51
                                        ; implicit-def: $vgpr50
                                        ; implicit-def: $sgpr55
	s_delay_alu instid0(VALU_DEP_1) | instskip(SKIP_1) | instid1(VALU_DEP_1)
	v_cmp_gt_i32_e64 s1, s8, v0
	v_cmp_le_i32_e64 s2, s8, v0
                                        ; implicit-def: $vgpr0_vgpr1
	s_and_saveexec_b32 s57, s2
	s_delay_alu instid0(SALU_CYCLE_1)
	s_xor_b32 s2, exec_lo, s57
	s_cbranch_execnz .LBB29_341
; %bb.188:                              ;   in Loop: Header=BB29_9 Depth=1
	s_and_not1_saveexec_b32 s2, s2
	s_cbranch_execnz .LBB29_358
.LBB29_189:                             ;   in Loop: Header=BB29_9 Depth=1
	s_or_b32 exec_lo, exec_lo, s2
	v_mov_b32_e32 v52, s55
	s_and_saveexec_b32 s0, s56
	s_cbranch_execz .LBB29_191
.LBB29_190:                             ;   in Loop: Header=BB29_9 Depth=1
	global_load_u16 v52, v[0:1], off
.LBB29_191:                             ;   in Loop: Header=BB29_9 Depth=1
	s_or_b32 exec_lo, exec_lo, s0
	v_and_b32_e32 v0, 0xffff0000, v43
	s_waitcnt vmcnt(0)
	v_lshlrev_b32_e32 v1, 16, v4
                                        ; implicit-def: $vgpr13
	s_delay_alu instid0(VALU_DEP_1) | instskip(NEXT) | instid1(VALU_DEP_1)
	v_mul_f32_e32 v0, v1, v0
	v_and_b32_e32 v1, 0x7f800000, v0
	s_delay_alu instid0(VALU_DEP_1) | instskip(NEXT) | instid1(VALU_DEP_1)
	v_cmp_ne_u32_e64 s0, 0x7f800000, v1
	s_and_saveexec_b32 s2, s0
	s_delay_alu instid0(SALU_CYCLE_1)
	s_xor_b32 s0, exec_lo, s2
; %bb.192:                              ;   in Loop: Header=BB29_9 Depth=1
	v_bfe_u32 v1, v0, 16, 1
	s_delay_alu instid0(VALU_DEP_1)
	v_add3_u32 v13, v0, v1, 0x7fff
                                        ; implicit-def: $vgpr0
; %bb.193:                              ;   in Loop: Header=BB29_9 Depth=1
	s_and_not1_saveexec_b32 s2, s0
; %bb.194:                              ;   in Loop: Header=BB29_9 Depth=1
	v_and_b32_e32 v1, 0xffff, v0
	v_or_b32_e32 v4, 0x10000, v0
	s_delay_alu instid0(VALU_DEP_2) | instskip(NEXT) | instid1(VALU_DEP_1)
	v_cmp_eq_u32_e64 s0, 0, v1
	v_cndmask_b32_e64 v13, v4, v0, s0
; %bb.195:                              ;   in Loop: Header=BB29_9 Depth=1
	s_or_b32 exec_lo, exec_lo, s2
	v_and_b32_e32 v0, 0xffff0000, v2
	v_lshlrev_b32_e32 v1, 16, v33
                                        ; implicit-def: $vgpr33
	s_delay_alu instid0(VALU_DEP_1) | instskip(NEXT) | instid1(VALU_DEP_1)
	v_mul_f32_e32 v0, v1, v0
	v_and_b32_e32 v1, 0x7f800000, v0
	s_delay_alu instid0(VALU_DEP_1) | instskip(NEXT) | instid1(VALU_DEP_1)
	v_cmp_ne_u32_e64 s0, 0x7f800000, v1
	s_and_saveexec_b32 s2, s0
	s_delay_alu instid0(SALU_CYCLE_1)
	s_xor_b32 s0, exec_lo, s2
; %bb.196:                              ;   in Loop: Header=BB29_9 Depth=1
	v_bfe_u32 v1, v0, 16, 1
	s_delay_alu instid0(VALU_DEP_1)
	v_add3_u32 v33, v0, v1, 0x7fff
                                        ; implicit-def: $vgpr0
; %bb.197:                              ;   in Loop: Header=BB29_9 Depth=1
	s_and_not1_saveexec_b32 s2, s0
; %bb.198:                              ;   in Loop: Header=BB29_9 Depth=1
	v_and_b32_e32 v1, 0xffff, v0
	v_or_b32_e32 v2, 0x10000, v0
	s_delay_alu instid0(VALU_DEP_2) | instskip(NEXT) | instid1(VALU_DEP_1)
	v_cmp_eq_u32_e64 s0, 0, v1
	v_cndmask_b32_e64 v33, v2, v0, s0
; %bb.199:                              ;   in Loop: Header=BB29_9 Depth=1
	s_or_b32 exec_lo, exec_lo, s2
	v_and_b32_e32 v0, 0xffff0000, v44
	v_lshlrev_b32_e32 v1, 16, v5
                                        ; implicit-def: $vgpr34
	s_delay_alu instid0(VALU_DEP_1) | instskip(NEXT) | instid1(VALU_DEP_1)
	v_mul_f32_e32 v0, v1, v0
	v_and_b32_e32 v1, 0x7f800000, v0
	s_delay_alu instid0(VALU_DEP_1) | instskip(NEXT) | instid1(VALU_DEP_1)
	v_cmp_ne_u32_e64 s0, 0x7f800000, v1
	s_and_saveexec_b32 s2, s0
	s_delay_alu instid0(SALU_CYCLE_1)
	s_xor_b32 s0, exec_lo, s2
; %bb.200:                              ;   in Loop: Header=BB29_9 Depth=1
	v_bfe_u32 v1, v0, 16, 1
	s_delay_alu instid0(VALU_DEP_1)
	v_add3_u32 v34, v0, v1, 0x7fff
                                        ; implicit-def: $vgpr0
; %bb.201:                              ;   in Loop: Header=BB29_9 Depth=1
	s_and_not1_saveexec_b32 s2, s0
; %bb.202:                              ;   in Loop: Header=BB29_9 Depth=1
	v_and_b32_e32 v1, 0xffff, v0
	v_or_b32_e32 v2, 0x10000, v0
	s_delay_alu instid0(VALU_DEP_2) | instskip(NEXT) | instid1(VALU_DEP_1)
	v_cmp_eq_u32_e64 s0, 0, v1
	v_cndmask_b32_e64 v34, v2, v0, s0
; %bb.203:                              ;   in Loop: Header=BB29_9 Depth=1
	s_or_b32 exec_lo, exec_lo, s2
	v_and_b32_e32 v0, 0xffff0000, v45
	v_lshlrev_b32_e32 v1, 16, v51
                                        ; implicit-def: $vgpr43
	s_delay_alu instid0(VALU_DEP_1) | instskip(NEXT) | instid1(VALU_DEP_1)
	v_mul_f32_e32 v0, v1, v0
	v_and_b32_e32 v1, 0x7f800000, v0
	s_delay_alu instid0(VALU_DEP_1) | instskip(NEXT) | instid1(VALU_DEP_1)
	v_cmp_ne_u32_e64 s0, 0x7f800000, v1
	s_and_saveexec_b32 s2, s0
	s_delay_alu instid0(SALU_CYCLE_1)
	s_xor_b32 s0, exec_lo, s2
; %bb.204:                              ;   in Loop: Header=BB29_9 Depth=1
	v_bfe_u32 v1, v0, 16, 1
	s_delay_alu instid0(VALU_DEP_1)
	v_add3_u32 v43, v0, v1, 0x7fff
                                        ; implicit-def: $vgpr0
; %bb.205:                              ;   in Loop: Header=BB29_9 Depth=1
	s_and_not1_saveexec_b32 s2, s0
; %bb.206:                              ;   in Loop: Header=BB29_9 Depth=1
	v_and_b32_e32 v1, 0xffff, v0
	v_or_b32_e32 v2, 0x10000, v0
	s_delay_alu instid0(VALU_DEP_2) | instskip(NEXT) | instid1(VALU_DEP_1)
	v_cmp_eq_u32_e64 s0, 0, v1
	v_cndmask_b32_e64 v43, v2, v0, s0
; %bb.207:                              ;   in Loop: Header=BB29_9 Depth=1
	s_or_b32 exec_lo, exec_lo, s2
	v_and_b32_e32 v0, 0xffff0000, v46
	v_lshlrev_b32_e32 v1, 16, v6
                                        ; implicit-def: $vgpr6
	s_delay_alu instid0(VALU_DEP_1) | instskip(NEXT) | instid1(VALU_DEP_1)
	v_mul_f32_e32 v0, v1, v0
	v_and_b32_e32 v1, 0x7f800000, v0
	s_delay_alu instid0(VALU_DEP_1) | instskip(NEXT) | instid1(VALU_DEP_1)
	v_cmp_ne_u32_e64 s0, 0x7f800000, v1
	s_and_saveexec_b32 s2, s0
	s_delay_alu instid0(SALU_CYCLE_1)
	s_xor_b32 s0, exec_lo, s2
; %bb.208:                              ;   in Loop: Header=BB29_9 Depth=1
	v_bfe_u32 v1, v0, 16, 1
	s_delay_alu instid0(VALU_DEP_1)
	v_add3_u32 v6, v0, v1, 0x7fff
                                        ; implicit-def: $vgpr0
; %bb.209:                              ;   in Loop: Header=BB29_9 Depth=1
	s_and_not1_saveexec_b32 s2, s0
; %bb.210:                              ;   in Loop: Header=BB29_9 Depth=1
	v_and_b32_e32 v1, 0xffff, v0
	v_or_b32_e32 v2, 0x10000, v0
	s_delay_alu instid0(VALU_DEP_2) | instskip(NEXT) | instid1(VALU_DEP_1)
	v_cmp_eq_u32_e64 s0, 0, v1
	v_cndmask_b32_e64 v6, v2, v0, s0
; %bb.211:                              ;   in Loop: Header=BB29_9 Depth=1
	s_or_b32 exec_lo, exec_lo, s2
	v_and_b32_e32 v0, 0xffff0000, v47
	v_lshlrev_b32_e32 v1, 16, v50
                                        ; implicit-def: $vgpr44
	s_delay_alu instid0(VALU_DEP_1) | instskip(NEXT) | instid1(VALU_DEP_1)
	v_mul_f32_e32 v0, v1, v0
	v_and_b32_e32 v1, 0x7f800000, v0
	s_delay_alu instid0(VALU_DEP_1) | instskip(NEXT) | instid1(VALU_DEP_1)
	v_cmp_ne_u32_e64 s0, 0x7f800000, v1
	s_and_saveexec_b32 s2, s0
	s_delay_alu instid0(SALU_CYCLE_1)
	s_xor_b32 s0, exec_lo, s2
; %bb.212:                              ;   in Loop: Header=BB29_9 Depth=1
	v_bfe_u32 v1, v0, 16, 1
	s_delay_alu instid0(VALU_DEP_1)
	v_add3_u32 v44, v0, v1, 0x7fff
                                        ; implicit-def: $vgpr0
; %bb.213:                              ;   in Loop: Header=BB29_9 Depth=1
	s_and_not1_saveexec_b32 s2, s0
; %bb.214:                              ;   in Loop: Header=BB29_9 Depth=1
	v_and_b32_e32 v1, 0xffff, v0
	v_or_b32_e32 v2, 0x10000, v0
	s_delay_alu instid0(VALU_DEP_2) | instskip(NEXT) | instid1(VALU_DEP_1)
	v_cmp_eq_u32_e64 s0, 0, v1
	v_cndmask_b32_e64 v44, v2, v0, s0
; %bb.215:                              ;   in Loop: Header=BB29_9 Depth=1
	s_or_b32 exec_lo, exec_lo, s2
	v_and_b32_e32 v0, 0xffff0000, v48
	v_lshlrev_b32_e32 v1, 16, v7
                                        ; implicit-def: $vgpr7
	s_delay_alu instid0(VALU_DEP_1) | instskip(NEXT) | instid1(VALU_DEP_1)
	v_mul_f32_e32 v0, v1, v0
	v_and_b32_e32 v1, 0x7f800000, v0
	s_delay_alu instid0(VALU_DEP_1) | instskip(NEXT) | instid1(VALU_DEP_1)
	v_cmp_ne_u32_e64 s0, 0x7f800000, v1
	s_and_saveexec_b32 s2, s0
	s_delay_alu instid0(SALU_CYCLE_1)
	s_xor_b32 s0, exec_lo, s2
; %bb.216:                              ;   in Loop: Header=BB29_9 Depth=1
	v_bfe_u32 v1, v0, 16, 1
	s_delay_alu instid0(VALU_DEP_1)
	v_add3_u32 v7, v0, v1, 0x7fff
                                        ; implicit-def: $vgpr0
; %bb.217:                              ;   in Loop: Header=BB29_9 Depth=1
	s_and_not1_saveexec_b32 s2, s0
; %bb.218:                              ;   in Loop: Header=BB29_9 Depth=1
	v_and_b32_e32 v1, 0xffff, v0
	v_or_b32_e32 v2, 0x10000, v0
	s_delay_alu instid0(VALU_DEP_2) | instskip(NEXT) | instid1(VALU_DEP_1)
	v_cmp_eq_u32_e64 s0, 0, v1
	v_cndmask_b32_e64 v7, v2, v0, s0
; %bb.219:                              ;   in Loop: Header=BB29_9 Depth=1
	s_or_b32 exec_lo, exec_lo, s2
	v_and_b32_e32 v0, 0xffff0000, v49
	v_lshlrev_b32_e32 v1, 16, v52
                                        ; implicit-def: $vgpr45
	s_delay_alu instid0(VALU_DEP_1) | instskip(NEXT) | instid1(VALU_DEP_1)
	v_mul_f32_e32 v0, v1, v0
	v_and_b32_e32 v1, 0x7f800000, v0
	s_delay_alu instid0(VALU_DEP_1) | instskip(NEXT) | instid1(VALU_DEP_1)
	v_cmp_ne_u32_e64 s0, 0x7f800000, v1
	s_and_saveexec_b32 s2, s0
	s_delay_alu instid0(SALU_CYCLE_1)
	s_xor_b32 s0, exec_lo, s2
; %bb.220:                              ;   in Loop: Header=BB29_9 Depth=1
	v_bfe_u32 v1, v0, 16, 1
	s_delay_alu instid0(VALU_DEP_1)
	v_add3_u32 v45, v0, v1, 0x7fff
                                        ; implicit-def: $vgpr0
; %bb.221:                              ;   in Loop: Header=BB29_9 Depth=1
	s_and_not1_saveexec_b32 s2, s0
; %bb.222:                              ;   in Loop: Header=BB29_9 Depth=1
	v_and_b32_e32 v1, 0xffff, v0
	v_or_b32_e32 v2, 0x10000, v0
	s_delay_alu instid0(VALU_DEP_2) | instskip(NEXT) | instid1(VALU_DEP_1)
	v_cmp_eq_u32_e64 s0, 0, v1
	v_cndmask_b32_e64 v45, v2, v0, s0
; %bb.223:                              ;   in Loop: Header=BB29_9 Depth=1
	s_or_b32 exec_lo, exec_lo, s2
	v_lshrrev_b16 v0, 4, v3
                                        ; implicit-def: $vgpr46
	s_delay_alu instid0(VALU_DEP_1) | instskip(NEXT) | instid1(VALU_DEP_1)
	v_and_b32_e32 v0, 15, v0
	v_and_b32_e32 v0, 0xffff, v0
	s_delay_alu instid0(VALU_DEP_1) | instskip(SKIP_3) | instid1(VALU_DEP_1)
	v_lshlrev_b32_e32 v0, 1, v0
	ds_load_u16 v0, v0
	s_waitcnt lgkmcnt(0)
	v_lshlrev_b32_e32 v0, 16, v0
	v_mul_f32_e32 v0, v26, v0
	s_delay_alu instid0(VALU_DEP_1) | instskip(NEXT) | instid1(VALU_DEP_1)
	v_and_b32_e32 v1, 0x7f800000, v0
	v_cmp_ne_u32_e64 s0, 0x7f800000, v1
	s_delay_alu instid0(VALU_DEP_1) | instskip(NEXT) | instid1(SALU_CYCLE_1)
	s_and_saveexec_b32 s2, s0
	s_xor_b32 s0, exec_lo, s2
; %bb.224:                              ;   in Loop: Header=BB29_9 Depth=1
	v_bfe_u32 v1, v0, 16, 1
	s_delay_alu instid0(VALU_DEP_1)
	v_add3_u32 v46, v0, v1, 0x7fff
                                        ; implicit-def: $vgpr0
; %bb.225:                              ;   in Loop: Header=BB29_9 Depth=1
	s_and_not1_saveexec_b32 s2, s0
; %bb.226:                              ;   in Loop: Header=BB29_9 Depth=1
	v_and_b32_e32 v1, 0xffff, v0
	v_or_b32_e32 v2, 0x10000, v0
	s_delay_alu instid0(VALU_DEP_2) | instskip(NEXT) | instid1(VALU_DEP_1)
	v_cmp_eq_u32_e64 s0, 0, v1
	v_cndmask_b32_e64 v46, v2, v0, s0
; %bb.227:                              ;   in Loop: Header=BB29_9 Depth=1
	s_or_b32 exec_lo, exec_lo, s2
	v_and_b32_e32 v0, 15, v3
                                        ; implicit-def: $vgpr47
	s_delay_alu instid0(VALU_DEP_1) | instskip(SKIP_3) | instid1(VALU_DEP_1)
	v_lshlrev_b32_e32 v0, 1, v0
	ds_load_u16 v0, v0
	s_waitcnt lgkmcnt(0)
	v_lshlrev_b32_e32 v0, 16, v0
	v_mul_f32_e32 v0, v26, v0
	s_delay_alu instid0(VALU_DEP_1) | instskip(NEXT) | instid1(VALU_DEP_1)
	v_and_b32_e32 v1, 0x7f800000, v0
	v_cmp_ne_u32_e64 s0, 0x7f800000, v1
	s_delay_alu instid0(VALU_DEP_1) | instskip(NEXT) | instid1(SALU_CYCLE_1)
	s_and_saveexec_b32 s2, s0
	s_xor_b32 s0, exec_lo, s2
; %bb.228:                              ;   in Loop: Header=BB29_9 Depth=1
	v_bfe_u32 v1, v0, 16, 1
	s_delay_alu instid0(VALU_DEP_1)
	v_add3_u32 v47, v0, v1, 0x7fff
                                        ; implicit-def: $vgpr0
; %bb.229:                              ;   in Loop: Header=BB29_9 Depth=1
	s_and_not1_saveexec_b32 s2, s0
; %bb.230:                              ;   in Loop: Header=BB29_9 Depth=1
	v_and_b32_e32 v1, 0xffff, v0
	v_or_b32_e32 v2, 0x10000, v0
	s_delay_alu instid0(VALU_DEP_2) | instskip(NEXT) | instid1(VALU_DEP_1)
	v_cmp_eq_u32_e64 s0, 0, v1
	v_cndmask_b32_e64 v47, v2, v0, s0
; %bb.231:                              ;   in Loop: Header=BB29_9 Depth=1
	s_or_b32 exec_lo, exec_lo, s2
	v_lshrrev_b16 v0, 4, v24
                                        ; implicit-def: $vgpr48
	s_delay_alu instid0(VALU_DEP_1) | instskip(NEXT) | instid1(VALU_DEP_1)
	v_and_b32_e32 v0, 15, v0
	v_and_b32_e32 v0, 0xffff, v0
	s_delay_alu instid0(VALU_DEP_1) | instskip(SKIP_3) | instid1(VALU_DEP_1)
	v_lshlrev_b32_e32 v0, 1, v0
	ds_load_u16 v0, v0
	s_waitcnt lgkmcnt(0)
	v_lshlrev_b32_e32 v0, 16, v0
	v_mul_f32_e32 v0, v26, v0
	s_delay_alu instid0(VALU_DEP_1) | instskip(NEXT) | instid1(VALU_DEP_1)
	v_and_b32_e32 v1, 0x7f800000, v0
	v_cmp_ne_u32_e64 s0, 0x7f800000, v1
	s_delay_alu instid0(VALU_DEP_1) | instskip(NEXT) | instid1(SALU_CYCLE_1)
	s_and_saveexec_b32 s2, s0
	s_xor_b32 s0, exec_lo, s2
; %bb.232:                              ;   in Loop: Header=BB29_9 Depth=1
	v_bfe_u32 v1, v0, 16, 1
	s_delay_alu instid0(VALU_DEP_1)
	v_add3_u32 v48, v0, v1, 0x7fff
                                        ; implicit-def: $vgpr0
; %bb.233:                              ;   in Loop: Header=BB29_9 Depth=1
	s_and_not1_saveexec_b32 s2, s0
; %bb.234:                              ;   in Loop: Header=BB29_9 Depth=1
	v_and_b32_e32 v1, 0xffff, v0
	v_or_b32_e32 v2, 0x10000, v0
	s_delay_alu instid0(VALU_DEP_2) | instskip(NEXT) | instid1(VALU_DEP_1)
	v_cmp_eq_u32_e64 s0, 0, v1
	v_cndmask_b32_e64 v48, v2, v0, s0
; %bb.235:                              ;   in Loop: Header=BB29_9 Depth=1
	s_or_b32 exec_lo, exec_lo, s2
	v_and_b32_e32 v0, 15, v24
                                        ; implicit-def: $vgpr24
	s_delay_alu instid0(VALU_DEP_1) | instskip(SKIP_3) | instid1(VALU_DEP_1)
	v_lshlrev_b32_e32 v0, 1, v0
	ds_load_u16 v0, v0
	s_waitcnt lgkmcnt(0)
	v_lshlrev_b32_e32 v0, 16, v0
	v_mul_f32_e32 v0, v26, v0
	s_delay_alu instid0(VALU_DEP_1) | instskip(NEXT) | instid1(VALU_DEP_1)
	v_and_b32_e32 v1, 0x7f800000, v0
	v_cmp_ne_u32_e64 s0, 0x7f800000, v1
	s_delay_alu instid0(VALU_DEP_1) | instskip(NEXT) | instid1(SALU_CYCLE_1)
	s_and_saveexec_b32 s2, s0
	s_xor_b32 s0, exec_lo, s2
; %bb.236:                              ;   in Loop: Header=BB29_9 Depth=1
	v_bfe_u32 v1, v0, 16, 1
	s_delay_alu instid0(VALU_DEP_1)
	v_add3_u32 v24, v0, v1, 0x7fff
                                        ; implicit-def: $vgpr0
; %bb.237:                              ;   in Loop: Header=BB29_9 Depth=1
	s_and_not1_saveexec_b32 s2, s0
; %bb.238:                              ;   in Loop: Header=BB29_9 Depth=1
	v_and_b32_e32 v1, 0xffff, v0
	v_or_b32_e32 v2, 0x10000, v0
	s_delay_alu instid0(VALU_DEP_2) | instskip(NEXT) | instid1(VALU_DEP_1)
	v_cmp_eq_u32_e64 s0, 0, v1
	v_cndmask_b32_e64 v24, v2, v0, s0
; %bb.239:                              ;   in Loop: Header=BB29_9 Depth=1
	s_or_b32 exec_lo, exec_lo, s2
	v_lshrrev_b16 v0, 4, v23
                                        ; implicit-def: $vgpr49
	s_delay_alu instid0(VALU_DEP_1) | instskip(NEXT) | instid1(VALU_DEP_1)
	v_and_b32_e32 v0, 15, v0
	v_and_b32_e32 v0, 0xffff, v0
	s_delay_alu instid0(VALU_DEP_1) | instskip(SKIP_3) | instid1(VALU_DEP_1)
	v_lshlrev_b32_e32 v0, 1, v0
	ds_load_u16 v0, v0
	s_waitcnt lgkmcnt(0)
	v_lshlrev_b32_e32 v0, 16, v0
	v_mul_f32_e32 v0, v26, v0
	s_delay_alu instid0(VALU_DEP_1) | instskip(NEXT) | instid1(VALU_DEP_1)
	v_and_b32_e32 v1, 0x7f800000, v0
	v_cmp_ne_u32_e64 s0, 0x7f800000, v1
	s_delay_alu instid0(VALU_DEP_1) | instskip(NEXT) | instid1(SALU_CYCLE_1)
	s_and_saveexec_b32 s2, s0
	s_xor_b32 s0, exec_lo, s2
; %bb.240:                              ;   in Loop: Header=BB29_9 Depth=1
	v_bfe_u32 v1, v0, 16, 1
	s_delay_alu instid0(VALU_DEP_1)
	v_add3_u32 v49, v0, v1, 0x7fff
                                        ; implicit-def: $vgpr0
; %bb.241:                              ;   in Loop: Header=BB29_9 Depth=1
	s_and_not1_saveexec_b32 s2, s0
; %bb.242:                              ;   in Loop: Header=BB29_9 Depth=1
	v_and_b32_e32 v1, 0xffff, v0
	v_or_b32_e32 v2, 0x10000, v0
	s_delay_alu instid0(VALU_DEP_2) | instskip(NEXT) | instid1(VALU_DEP_1)
	v_cmp_eq_u32_e64 s0, 0, v1
	v_cndmask_b32_e64 v49, v2, v0, s0
; %bb.243:                              ;   in Loop: Header=BB29_9 Depth=1
	s_or_b32 exec_lo, exec_lo, s2
	v_and_b32_e32 v0, 15, v23
                                        ; implicit-def: $vgpr23
	s_delay_alu instid0(VALU_DEP_1) | instskip(SKIP_3) | instid1(VALU_DEP_1)
	v_lshlrev_b32_e32 v0, 1, v0
	ds_load_u16 v0, v0
	s_waitcnt lgkmcnt(0)
	v_lshlrev_b32_e32 v0, 16, v0
	v_mul_f32_e32 v0, v26, v0
	s_delay_alu instid0(VALU_DEP_1) | instskip(NEXT) | instid1(VALU_DEP_1)
	v_and_b32_e32 v1, 0x7f800000, v0
	v_cmp_ne_u32_e64 s0, 0x7f800000, v1
	s_delay_alu instid0(VALU_DEP_1) | instskip(NEXT) | instid1(SALU_CYCLE_1)
	s_and_saveexec_b32 s2, s0
	s_xor_b32 s0, exec_lo, s2
; %bb.244:                              ;   in Loop: Header=BB29_9 Depth=1
	v_bfe_u32 v1, v0, 16, 1
	s_delay_alu instid0(VALU_DEP_1)
	v_add3_u32 v23, v0, v1, 0x7fff
                                        ; implicit-def: $vgpr0
; %bb.245:                              ;   in Loop: Header=BB29_9 Depth=1
	s_and_not1_saveexec_b32 s2, s0
; %bb.246:                              ;   in Loop: Header=BB29_9 Depth=1
	v_and_b32_e32 v1, 0xffff, v0
	v_or_b32_e32 v2, 0x10000, v0
	s_delay_alu instid0(VALU_DEP_2) | instskip(NEXT) | instid1(VALU_DEP_1)
	v_cmp_eq_u32_e64 s0, 0, v1
	v_cndmask_b32_e64 v23, v2, v0, s0
; %bb.247:                              ;   in Loop: Header=BB29_9 Depth=1
	s_or_b32 exec_lo, exec_lo, s2
	v_lshrrev_b16 v0, 4, v25
                                        ; implicit-def: $vgpr50
	s_delay_alu instid0(VALU_DEP_1) | instskip(NEXT) | instid1(VALU_DEP_1)
	v_and_b32_e32 v0, 15, v0
	v_and_b32_e32 v0, 0xffff, v0
	s_delay_alu instid0(VALU_DEP_1) | instskip(SKIP_3) | instid1(VALU_DEP_1)
	v_lshlrev_b32_e32 v0, 1, v0
	ds_load_u16 v0, v0
	s_waitcnt lgkmcnt(0)
	v_lshlrev_b32_e32 v0, 16, v0
	v_mul_f32_e32 v0, v26, v0
	s_delay_alu instid0(VALU_DEP_1) | instskip(NEXT) | instid1(VALU_DEP_1)
	v_and_b32_e32 v1, 0x7f800000, v0
	v_cmp_ne_u32_e64 s0, 0x7f800000, v1
	s_delay_alu instid0(VALU_DEP_1) | instskip(NEXT) | instid1(SALU_CYCLE_1)
	s_and_saveexec_b32 s2, s0
	s_xor_b32 s0, exec_lo, s2
; %bb.248:                              ;   in Loop: Header=BB29_9 Depth=1
	v_bfe_u32 v1, v0, 16, 1
	s_delay_alu instid0(VALU_DEP_1)
	v_add3_u32 v50, v0, v1, 0x7fff
                                        ; implicit-def: $vgpr0
; %bb.249:                              ;   in Loop: Header=BB29_9 Depth=1
	s_and_not1_saveexec_b32 s2, s0
; %bb.250:                              ;   in Loop: Header=BB29_9 Depth=1
	v_and_b32_e32 v1, 0xffff, v0
	v_or_b32_e32 v2, 0x10000, v0
	s_delay_alu instid0(VALU_DEP_2) | instskip(NEXT) | instid1(VALU_DEP_1)
	v_cmp_eq_u32_e64 s0, 0, v1
	v_cndmask_b32_e64 v50, v2, v0, s0
; %bb.251:                              ;   in Loop: Header=BB29_9 Depth=1
	s_or_b32 exec_lo, exec_lo, s2
	v_and_b32_e32 v0, 15, v25
                                        ; implicit-def: $vgpr25
	s_delay_alu instid0(VALU_DEP_1) | instskip(SKIP_3) | instid1(VALU_DEP_1)
	v_lshlrev_b32_e32 v0, 1, v0
	ds_load_u16 v0, v0
	s_waitcnt lgkmcnt(0)
	v_lshlrev_b32_e32 v0, 16, v0
	v_mul_f32_e32 v0, v26, v0
	s_delay_alu instid0(VALU_DEP_1) | instskip(NEXT) | instid1(VALU_DEP_1)
	v_and_b32_e32 v1, 0x7f800000, v0
	v_cmp_ne_u32_e64 s0, 0x7f800000, v1
	s_delay_alu instid0(VALU_DEP_1) | instskip(NEXT) | instid1(SALU_CYCLE_1)
	s_and_saveexec_b32 s2, s0
	s_xor_b32 s0, exec_lo, s2
; %bb.252:                              ;   in Loop: Header=BB29_9 Depth=1
	v_bfe_u32 v1, v0, 16, 1
	s_delay_alu instid0(VALU_DEP_1)
	v_add3_u32 v25, v0, v1, 0x7fff
                                        ; implicit-def: $vgpr0
; %bb.253:                              ;   in Loop: Header=BB29_9 Depth=1
	s_and_not1_saveexec_b32 s2, s0
; %bb.254:                              ;   in Loop: Header=BB29_9 Depth=1
	v_and_b32_e32 v1, 0xffff, v0
	v_or_b32_e32 v2, 0x10000, v0
	s_delay_alu instid0(VALU_DEP_2) | instskip(NEXT) | instid1(VALU_DEP_1)
	v_cmp_eq_u32_e64 s0, 0, v1
	v_cndmask_b32_e64 v25, v2, v0, s0
; %bb.255:                              ;   in Loop: Header=BB29_9 Depth=1
	s_or_b32 exec_lo, exec_lo, s2
	s_mov_b32 s2, 0
	s_mov_b32 s55, exec_lo
                                        ; implicit-def: $vgpr0
                                        ; implicit-def: $vgpr52
                                        ; implicit-def: $vgpr51
                                        ; implicit-def: $vgpr26
                                        ; implicit-def: $sgpr56
	v_cmpx_le_i32_e64 s8, v19
	s_xor_b32 s55, exec_lo, s55
	s_cbranch_execz .LBB29_271
; %bb.256:                              ;   in Loop: Header=BB29_9 Depth=1
	v_mov_b32_e32 v52, 0
	v_mov_b32_e32 v0, 0
	s_and_saveexec_b32 s0, s1
	s_cbranch_execz .LBB29_258
; %bb.257:                              ;   in Loop: Header=BB29_9 Depth=1
	global_load_u16 v0, v[11:12], off offset:-14
.LBB29_258:                             ;   in Loop: Header=BB29_9 Depth=1
	s_or_b32 exec_lo, exec_lo, s0
	v_add_nc_u32_e32 v1, -7, v19
	s_mov_b32 s1, exec_lo
	s_delay_alu instid0(VALU_DEP_1)
	v_cmpx_gt_i32_e64 s8, v1
	s_cbranch_execz .LBB29_260
; %bb.259:                              ;   in Loop: Header=BB29_9 Depth=1
	global_load_u16 v52, v[11:12], off offset:-12
.LBB29_260:                             ;   in Loop: Header=BB29_9 Depth=1
	s_or_b32 exec_lo, exec_lo, s1
	v_add_nc_u32_e32 v1, -6, v19
	v_mov_b32_e32 v51, 0
	s_delay_alu instid0(VALU_DEP_2) | instskip(SKIP_1) | instid1(VALU_DEP_2)
	v_cmp_gt_i32_e64 s0, s8, v1
	v_mov_b32_e32 v1, 0
	s_and_saveexec_b32 s1, s0
	s_cbranch_execz .LBB29_262
; %bb.261:                              ;   in Loop: Header=BB29_9 Depth=1
	global_load_u16 v1, v[11:12], off offset:-10
.LBB29_262:                             ;   in Loop: Header=BB29_9 Depth=1
	s_or_b32 exec_lo, exec_lo, s1
	v_add_nc_u32_e32 v2, -5, v19
	s_mov_b32 s1, exec_lo
	s_delay_alu instid0(VALU_DEP_1)
	v_cmpx_gt_i32_e64 s8, v2
	s_cbranch_execz .LBB29_264
; %bb.263:                              ;   in Loop: Header=BB29_9 Depth=1
	global_load_u16 v51, v[11:12], off offset:-8
.LBB29_264:                             ;   in Loop: Header=BB29_9 Depth=1
	s_or_b32 exec_lo, exec_lo, s1
	v_add_nc_u32_e32 v2, -4, v19
	v_mov_b32_e32 v26, 0
	s_delay_alu instid0(VALU_DEP_2) | instskip(SKIP_1) | instid1(VALU_DEP_2)
	v_cmp_gt_i32_e64 s0, s8, v2
	v_mov_b32_e32 v2, 0
	s_and_saveexec_b32 s1, s0
	s_cbranch_execz .LBB29_266
; %bb.265:                              ;   in Loop: Header=BB29_9 Depth=1
	global_load_u16 v2, v[11:12], off offset:-6
.LBB29_266:                             ;   in Loop: Header=BB29_9 Depth=1
	s_or_b32 exec_lo, exec_lo, s1
	v_add_nc_u32_e32 v3, -3, v19
	s_mov_b32 s1, exec_lo
	s_delay_alu instid0(VALU_DEP_1)
	v_cmpx_gt_i32_e64 s8, v3
	s_cbranch_execz .LBB29_268
; %bb.267:                              ;   in Loop: Header=BB29_9 Depth=1
	global_load_u16 v26, v[11:12], off offset:-4
.LBB29_268:                             ;   in Loop: Header=BB29_9 Depth=1
	s_or_b32 exec_lo, exec_lo, s1
	v_add_nc_u32_e32 v3, -2, v19
	s_delay_alu instid0(VALU_DEP_1) | instskip(SKIP_1) | instid1(VALU_DEP_2)
	v_cmp_gt_i32_e64 s0, s8, v3
	v_mov_b32_e32 v3, 0
	s_and_saveexec_b32 s1, s0
	s_cbranch_execz .LBB29_270
; %bb.269:                              ;   in Loop: Header=BB29_9 Depth=1
	global_load_u16 v3, v[11:12], off offset:-2
.LBB29_270:                             ;   in Loop: Header=BB29_9 Depth=1
	s_or_b32 exec_lo, exec_lo, s1
	v_add_nc_u32_e32 v4, -1, v19
	s_mov_b32 s56, 0
	s_delay_alu instid0(VALU_DEP_1) | instskip(NEXT) | instid1(VALU_DEP_1)
	v_cmp_gt_i32_e64 s0, s8, v4
	s_and_b32 s2, s0, exec_lo
.LBB29_271:                             ;   in Loop: Header=BB29_9 Depth=1
	s_or_saveexec_b32 s1, s55
	v_dual_mov_b32 v4, v11 :: v_dual_mov_b32 v5, v12
	s_xor_b32 exec_lo, exec_lo, s1
	s_cbranch_execz .LBB29_273
; %bb.272:                              ;   in Loop: Header=BB29_9 Depth=1
	global_load_b128 v[0:3], v[11:12], off offset:-14
	v_lshlrev_b64 v[4:5], 4, v[9:10]
	s_or_b32 s2, s2, exec_lo
	s_delay_alu instid0(VALU_DEP_1) | instskip(NEXT) | instid1(VALU_DEP_1)
	v_add_co_u32 v4, s0, s52, v4
	v_add_co_ci_u32_e64 v5, s0, s54, v5, s0
	s_delay_alu instid0(VALU_DEP_2) | instskip(NEXT) | instid1(VALU_DEP_1)
	v_add_co_u32 v4, s0, v4, 14
	v_add_co_ci_u32_e64 v5, s0, 0, v5, s0
	s_waitcnt vmcnt(0)
	v_lshrrev_b32_e32 v52, 16, v0
	v_lshrrev_b32_e32 v51, 16, v1
	;; [unrolled: 1-line block ×3, first 2 shown]
.LBB29_273:                             ;   in Loop: Header=BB29_9 Depth=1
	s_or_b32 exec_lo, exec_lo, s1
	v_mov_b32_e32 v9, s56
	s_and_saveexec_b32 s0, s2
	s_cbranch_execz .LBB29_275
; %bb.274:                              ;   in Loop: Header=BB29_9 Depth=1
	global_load_u16 v9, v[4:5], off
.LBB29_275:                             ;   in Loop: Header=BB29_9 Depth=1
	s_or_b32 exec_lo, exec_lo, s0
	v_and_b32_e32 v4, 0xffff0000, v46
	s_waitcnt vmcnt(0)
	v_lshlrev_b32_e32 v0, 16, v0
	s_delay_alu instid0(VALU_DEP_1) | instskip(NEXT) | instid1(VALU_DEP_1)
	v_mul_f32_e32 v4, v0, v4
	v_and_b32_e32 v0, 0x7f800000, v4
	s_delay_alu instid0(VALU_DEP_1) | instskip(NEXT) | instid1(VALU_DEP_1)
	v_cmp_ne_u32_e64 s0, 0x7f800000, v0
                                        ; implicit-def: $vgpr0
	s_and_saveexec_b32 s1, s0
	s_delay_alu instid0(SALU_CYCLE_1)
	s_xor_b32 s0, exec_lo, s1
; %bb.276:                              ;   in Loop: Header=BB29_9 Depth=1
	v_bfe_u32 v0, v4, 16, 1
	s_delay_alu instid0(VALU_DEP_1)
	v_add3_u32 v0, v4, v0, 0x7fff
                                        ; implicit-def: $vgpr4
; %bb.277:                              ;   in Loop: Header=BB29_9 Depth=1
	s_and_not1_saveexec_b32 s1, s0
; %bb.278:                              ;   in Loop: Header=BB29_9 Depth=1
	v_and_b32_e32 v0, 0xffff, v4
	v_or_b32_e32 v5, 0x10000, v4
	s_delay_alu instid0(VALU_DEP_2) | instskip(NEXT) | instid1(VALU_DEP_1)
	v_cmp_eq_u32_e64 s0, 0, v0
	v_cndmask_b32_e64 v0, v5, v4, s0
; %bb.279:                              ;   in Loop: Header=BB29_9 Depth=1
	s_or_b32 exec_lo, exec_lo, s1
	v_and_b32_e32 v4, 0xffff0000, v47
	v_lshlrev_b32_e32 v5, 16, v52
	s_delay_alu instid0(VALU_DEP_1) | instskip(NEXT) | instid1(VALU_DEP_1)
	v_mul_f32_e32 v5, v5, v4
	v_and_b32_e32 v4, 0x7f800000, v5
	s_delay_alu instid0(VALU_DEP_1) | instskip(NEXT) | instid1(VALU_DEP_1)
	v_cmp_ne_u32_e64 s0, 0x7f800000, v4
                                        ; implicit-def: $vgpr4
	s_and_saveexec_b32 s1, s0
	s_delay_alu instid0(SALU_CYCLE_1)
	s_xor_b32 s0, exec_lo, s1
; %bb.280:                              ;   in Loop: Header=BB29_9 Depth=1
	v_bfe_u32 v4, v5, 16, 1
	s_delay_alu instid0(VALU_DEP_1)
	v_add3_u32 v4, v5, v4, 0x7fff
                                        ; implicit-def: $vgpr5
; %bb.281:                              ;   in Loop: Header=BB29_9 Depth=1
	s_and_not1_saveexec_b32 s1, s0
; %bb.282:                              ;   in Loop: Header=BB29_9 Depth=1
	v_and_b32_e32 v4, 0xffff, v5
	v_or_b32_e32 v46, 0x10000, v5
	s_delay_alu instid0(VALU_DEP_2) | instskip(NEXT) | instid1(VALU_DEP_1)
	v_cmp_eq_u32_e64 s0, 0, v4
	v_cndmask_b32_e64 v4, v46, v5, s0
; %bb.283:                              ;   in Loop: Header=BB29_9 Depth=1
	s_or_b32 exec_lo, exec_lo, s1
	v_and_b32_e32 v5, 0xffff0000, v48
	v_lshlrev_b32_e32 v1, 16, v1
	s_delay_alu instid0(VALU_DEP_1) | instskip(NEXT) | instid1(VALU_DEP_1)
	v_mul_f32_e32 v5, v1, v5
	v_and_b32_e32 v1, 0x7f800000, v5
	s_delay_alu instid0(VALU_DEP_1) | instskip(NEXT) | instid1(VALU_DEP_1)
	v_cmp_ne_u32_e64 s0, 0x7f800000, v1
                                        ; implicit-def: $vgpr1
	s_and_saveexec_b32 s1, s0
	s_delay_alu instid0(SALU_CYCLE_1)
	s_xor_b32 s0, exec_lo, s1
; %bb.284:                              ;   in Loop: Header=BB29_9 Depth=1
	v_bfe_u32 v1, v5, 16, 1
	s_delay_alu instid0(VALU_DEP_1)
	v_add3_u32 v1, v5, v1, 0x7fff
                                        ; implicit-def: $vgpr5
; %bb.285:                              ;   in Loop: Header=BB29_9 Depth=1
	s_and_not1_saveexec_b32 s1, s0
; %bb.286:                              ;   in Loop: Header=BB29_9 Depth=1
	v_and_b32_e32 v1, 0xffff, v5
	v_or_b32_e32 v46, 0x10000, v5
	s_delay_alu instid0(VALU_DEP_2) | instskip(NEXT) | instid1(VALU_DEP_1)
	v_cmp_eq_u32_e64 s0, 0, v1
	v_cndmask_b32_e64 v1, v46, v5, s0
; %bb.287:                              ;   in Loop: Header=BB29_9 Depth=1
	s_or_b32 exec_lo, exec_lo, s1
	v_and_b32_e32 v5, 0xffff0000, v24
	v_lshlrev_b32_e32 v24, 16, v51
	s_delay_alu instid0(VALU_DEP_1) | instskip(NEXT) | instid1(VALU_DEP_1)
	v_mul_f32_e32 v24, v24, v5
	v_and_b32_e32 v5, 0x7f800000, v24
	s_delay_alu instid0(VALU_DEP_1) | instskip(NEXT) | instid1(VALU_DEP_1)
	v_cmp_ne_u32_e64 s0, 0x7f800000, v5
                                        ; implicit-def: $vgpr5
	s_and_saveexec_b32 s1, s0
	s_delay_alu instid0(SALU_CYCLE_1)
	s_xor_b32 s0, exec_lo, s1
; %bb.288:                              ;   in Loop: Header=BB29_9 Depth=1
	v_bfe_u32 v5, v24, 16, 1
	s_delay_alu instid0(VALU_DEP_1)
	v_add3_u32 v5, v24, v5, 0x7fff
                                        ; implicit-def: $vgpr24
; %bb.289:                              ;   in Loop: Header=BB29_9 Depth=1
	s_and_not1_saveexec_b32 s1, s0
; %bb.290:                              ;   in Loop: Header=BB29_9 Depth=1
	v_and_b32_e32 v5, 0xffff, v24
	v_or_b32_e32 v46, 0x10000, v24
	s_delay_alu instid0(VALU_DEP_2) | instskip(NEXT) | instid1(VALU_DEP_1)
	v_cmp_eq_u32_e64 s0, 0, v5
	v_cndmask_b32_e64 v5, v46, v24, s0
; %bb.291:                              ;   in Loop: Header=BB29_9 Depth=1
	s_or_b32 exec_lo, exec_lo, s1
	v_and_b32_e32 v24, 0xffff0000, v49
	v_lshlrev_b32_e32 v2, 16, v2
	s_delay_alu instid0(VALU_DEP_1) | instskip(NEXT) | instid1(VALU_DEP_1)
	v_mul_f32_e32 v24, v2, v24
	v_and_b32_e32 v2, 0x7f800000, v24
	s_delay_alu instid0(VALU_DEP_1) | instskip(NEXT) | instid1(VALU_DEP_1)
	v_cmp_ne_u32_e64 s0, 0x7f800000, v2
                                        ; implicit-def: $vgpr2
	s_and_saveexec_b32 s1, s0
	s_delay_alu instid0(SALU_CYCLE_1)
	s_xor_b32 s0, exec_lo, s1
; %bb.292:                              ;   in Loop: Header=BB29_9 Depth=1
	v_bfe_u32 v2, v24, 16, 1
	s_delay_alu instid0(VALU_DEP_1)
	v_add3_u32 v2, v24, v2, 0x7fff
                                        ; implicit-def: $vgpr24
; %bb.293:                              ;   in Loop: Header=BB29_9 Depth=1
	s_and_not1_saveexec_b32 s1, s0
; %bb.294:                              ;   in Loop: Header=BB29_9 Depth=1
	v_and_b32_e32 v2, 0xffff, v24
	v_or_b32_e32 v46, 0x10000, v24
	s_delay_alu instid0(VALU_DEP_2) | instskip(NEXT) | instid1(VALU_DEP_1)
	v_cmp_eq_u32_e64 s0, 0, v2
	v_cndmask_b32_e64 v2, v46, v24, s0
; %bb.295:                              ;   in Loop: Header=BB29_9 Depth=1
	s_or_b32 exec_lo, exec_lo, s1
	v_and_b32_e32 v23, 0xffff0000, v23
	v_lshlrev_b32_e32 v24, 16, v26
	s_delay_alu instid0(VALU_DEP_1) | instskip(NEXT) | instid1(VALU_DEP_1)
	v_mul_f32_e32 v24, v24, v23
	v_and_b32_e32 v23, 0x7f800000, v24
	s_delay_alu instid0(VALU_DEP_1) | instskip(NEXT) | instid1(VALU_DEP_1)
	v_cmp_ne_u32_e64 s0, 0x7f800000, v23
                                        ; implicit-def: $vgpr23
	s_and_saveexec_b32 s1, s0
	s_delay_alu instid0(SALU_CYCLE_1)
	s_xor_b32 s0, exec_lo, s1
; %bb.296:                              ;   in Loop: Header=BB29_9 Depth=1
	v_bfe_u32 v23, v24, 16, 1
	s_delay_alu instid0(VALU_DEP_1)
	v_add3_u32 v23, v24, v23, 0x7fff
                                        ; implicit-def: $vgpr24
; %bb.297:                              ;   in Loop: Header=BB29_9 Depth=1
	s_and_not1_saveexec_b32 s1, s0
; %bb.298:                              ;   in Loop: Header=BB29_9 Depth=1
	v_and_b32_e32 v23, 0xffff, v24
	v_or_b32_e32 v26, 0x10000, v24
	s_delay_alu instid0(VALU_DEP_2) | instskip(NEXT) | instid1(VALU_DEP_1)
	v_cmp_eq_u32_e64 s0, 0, v23
	v_cndmask_b32_e64 v23, v26, v24, s0
; %bb.299:                              ;   in Loop: Header=BB29_9 Depth=1
	s_or_b32 exec_lo, exec_lo, s1
	v_and_b32_e32 v24, 0xffff0000, v50
	v_lshlrev_b32_e32 v3, 16, v3
	s_delay_alu instid0(VALU_DEP_1) | instskip(NEXT) | instid1(VALU_DEP_1)
	v_mul_f32_e32 v24, v3, v24
	v_and_b32_e32 v3, 0x7f800000, v24
	s_delay_alu instid0(VALU_DEP_1) | instskip(NEXT) | instid1(VALU_DEP_1)
	v_cmp_ne_u32_e64 s0, 0x7f800000, v3
                                        ; implicit-def: $vgpr3
	s_and_saveexec_b32 s1, s0
	s_delay_alu instid0(SALU_CYCLE_1)
	s_xor_b32 s0, exec_lo, s1
; %bb.300:                              ;   in Loop: Header=BB29_9 Depth=1
	v_bfe_u32 v3, v24, 16, 1
	s_delay_alu instid0(VALU_DEP_1)
	v_add3_u32 v3, v24, v3, 0x7fff
                                        ; implicit-def: $vgpr24
; %bb.301:                              ;   in Loop: Header=BB29_9 Depth=1
	s_and_not1_saveexec_b32 s1, s0
; %bb.302:                              ;   in Loop: Header=BB29_9 Depth=1
	v_and_b32_e32 v3, 0xffff, v24
	v_or_b32_e32 v26, 0x10000, v24
	s_delay_alu instid0(VALU_DEP_2) | instskip(NEXT) | instid1(VALU_DEP_1)
	v_cmp_eq_u32_e64 s0, 0, v3
	v_cndmask_b32_e64 v3, v26, v24, s0
; %bb.303:                              ;   in Loop: Header=BB29_9 Depth=1
	s_or_b32 exec_lo, exec_lo, s1
	v_and_b32_e32 v24, 0xffff0000, v25
	v_lshlrev_b32_e32 v9, 16, v9
	s_delay_alu instid0(VALU_DEP_1) | instskip(NEXT) | instid1(VALU_DEP_1)
	v_mul_f32_e32 v24, v9, v24
	v_and_b32_e32 v9, 0x7f800000, v24
	s_delay_alu instid0(VALU_DEP_1) | instskip(NEXT) | instid1(VALU_DEP_1)
	v_cmp_ne_u32_e64 s0, 0x7f800000, v9
                                        ; implicit-def: $vgpr9
	s_and_saveexec_b32 s1, s0
	s_delay_alu instid0(SALU_CYCLE_1)
	s_xor_b32 s0, exec_lo, s1
; %bb.304:                              ;   in Loop: Header=BB29_9 Depth=1
	v_bfe_u32 v9, v24, 16, 1
	s_delay_alu instid0(VALU_DEP_1)
	v_add3_u32 v9, v24, v9, 0x7fff
                                        ; implicit-def: $vgpr24
; %bb.305:                              ;   in Loop: Header=BB29_9 Depth=1
	s_and_not1_saveexec_b32 s1, s0
	s_cbranch_execz .LBB29_8
; %bb.306:                              ;   in Loop: Header=BB29_9 Depth=1
	v_and_b32_e32 v9, 0xffff, v24
	v_or_b32_e32 v25, 0x10000, v24
	s_delay_alu instid0(VALU_DEP_2) | instskip(NEXT) | instid1(VALU_DEP_1)
	v_cmp_eq_u32_e64 s0, 0, v9
	v_cndmask_b32_e64 v9, v25, v24, s0
	s_branch .LBB29_8
.LBB29_307:                             ;   in Loop: Header=BB29_9 Depth=1
	global_load_u16 v4, v[11:12], off offset:-62
	v_subrev_nc_u32_e32 v5, 31, v19
	v_mov_b32_e32 v41, 0
	s_delay_alu instid0(VALU_DEP_2) | instskip(SKIP_1) | instid1(VALU_DEP_2)
	v_cmp_gt_i32_e64 s0, s8, v5
	v_mov_b32_e32 v5, 0
	s_and_saveexec_b32 s2, s0
	s_cbranch_execz .LBB29_309
; %bb.308:                              ;   in Loop: Header=BB29_9 Depth=1
	global_load_u16 v41, v[11:12], off offset:-60
.LBB29_309:                             ;   in Loop: Header=BB29_9 Depth=1
	s_or_b32 exec_lo, exec_lo, s2
	v_subrev_nc_u32_e32 v6, 30, v19
	s_mov_b32 s2, exec_lo
	s_delay_alu instid0(VALU_DEP_1)
	v_cmpx_gt_i32_e64 s8, v6
	s_cbranch_execz .LBB29_311
; %bb.310:                              ;   in Loop: Header=BB29_9 Depth=1
	global_load_u16 v5, v[11:12], off offset:-58
.LBB29_311:                             ;   in Loop: Header=BB29_9 Depth=1
	s_or_b32 exec_lo, exec_lo, s2
	v_subrev_nc_u32_e32 v7, 29, v19
	v_mov_b32_e32 v6, 0
	v_mov_b32_e32 v40, 0
	s_mov_b32 s2, exec_lo
	s_delay_alu instid0(VALU_DEP_3)
	v_cmpx_gt_i32_e64 s8, v7
	s_cbranch_execz .LBB29_313
; %bb.312:                              ;   in Loop: Header=BB29_9 Depth=1
	global_load_u16 v40, v[11:12], off offset:-56
.LBB29_313:                             ;   in Loop: Header=BB29_9 Depth=1
	s_or_b32 exec_lo, exec_lo, s2
	v_subrev_nc_u32_e32 v7, 28, v19
	s_mov_b32 s2, exec_lo
	s_delay_alu instid0(VALU_DEP_1)
	v_cmpx_gt_i32_e64 s8, v7
	s_cbranch_execz .LBB29_315
; %bb.314:                              ;   in Loop: Header=BB29_9 Depth=1
	global_load_u16 v6, v[11:12], off offset:-54
.LBB29_315:                             ;   in Loop: Header=BB29_9 Depth=1
	s_or_b32 exec_lo, exec_lo, s2
	v_subrev_nc_u32_e32 v9, 27, v19
	v_mov_b32_e32 v7, 0
	v_mov_b32_e32 v39, 0
	s_mov_b32 s2, exec_lo
	s_delay_alu instid0(VALU_DEP_3)
	v_cmpx_gt_i32_e64 s8, v9
	s_cbranch_execz .LBB29_317
; %bb.316:                              ;   in Loop: Header=BB29_9 Depth=1
	global_load_u16 v39, v[11:12], off offset:-52
.LBB29_317:                             ;   in Loop: Header=BB29_9 Depth=1
	s_or_b32 exec_lo, exec_lo, s2
	v_subrev_nc_u32_e32 v9, 26, v19
	s_mov_b32 s2, exec_lo
	s_delay_alu instid0(VALU_DEP_1)
	v_cmpx_gt_i32_e64 s8, v9
	s_cbranch_execz .LBB29_319
; %bb.318:                              ;   in Loop: Header=BB29_9 Depth=1
	global_load_u16 v7, v[11:12], off offset:-50
.LBB29_319:                             ;   in Loop: Header=BB29_9 Depth=1
	s_or_b32 exec_lo, exec_lo, s2
	v_subrev_nc_u32_e32 v9, 25, v19
	s_mov_b32 s2, 0
	s_mov_b32 s57, exec_lo
                                        ; implicit-def: $vgpr14_vgpr15
	s_delay_alu instid0(VALU_DEP_1)
	v_cmpx_gt_i32_e64 s8, v9
	s_xor_b32 s57, exec_lo, s57
; %bb.320:                              ;   in Loop: Header=BB29_9 Depth=1
	v_add_co_u32 v14, s0, 0xffffffd0, v11
	s_delay_alu instid0(VALU_DEP_1)
	v_add_co_ci_u32_e64 v15, s0, -1, v12, s0
	s_mov_b32 s56, exec_lo
; %bb.321:                              ;   in Loop: Header=BB29_9 Depth=1
	s_or_b32 exec_lo, exec_lo, s57
	s_delay_alu instid0(SALU_CYCLE_1)
	s_and_b32 s56, s56, exec_lo
	s_or_saveexec_b32 s55, s55
	v_lshrrev_b32_e32 v9, 3, v17
	s_xor_b32 exec_lo, exec_lo, s55
	s_cbranch_execz .LBB29_53
.LBB29_322:                             ;   in Loop: Header=BB29_9 Depth=1
	global_load_b128 v[4:7], v[11:12], off offset:-62
	v_lshlrev_b64 v[14:15], 4, v[9:10]
	s_or_b32 s56, s56, exec_lo
	s_delay_alu instid0(VALU_DEP_1) | instskip(NEXT) | instid1(VALU_DEP_1)
	v_add_co_u32 v14, s0, s12, v14
	v_add_co_ci_u32_e64 v15, s0, s13, v15, s0
	s_delay_alu instid0(VALU_DEP_2) | instskip(NEXT) | instid1(VALU_DEP_1)
	v_add_co_u32 v14, s0, v14, 14
	v_add_co_ci_u32_e64 v15, s0, 0, v15, s0
	s_waitcnt vmcnt(0)
	v_lshrrev_b32_e32 v41, 16, v4
	v_lshrrev_b32_e32 v40, 16, v5
	;; [unrolled: 1-line block ×3, first 2 shown]
	s_or_b32 exec_lo, exec_lo, s55
	v_mov_b32_e32 v42, s2
	s_and_saveexec_b32 s0, s56
	s_cbranch_execnz .LBB29_54
	s_branch .LBB29_55
.LBB29_323:                             ;   in Loop: Header=BB29_9 Depth=1
	v_mov_b32_e32 v36, 0
	v_mov_b32_e32 v4, 0
	s_and_saveexec_b32 s55, s1
	s_cbranch_execz .LBB29_325
; %bb.324:                              ;   in Loop: Header=BB29_9 Depth=1
	global_load_u16 v4, v[11:12], off offset:-46
.LBB29_325:                             ;   in Loop: Header=BB29_9 Depth=1
	s_or_b32 exec_lo, exec_lo, s55
	v_subrev_nc_u32_e32 v0, 23, v19
	s_mov_b32 s55, exec_lo
	s_delay_alu instid0(VALU_DEP_1)
	v_cmpx_gt_i32_e64 s8, v0
	s_cbranch_execz .LBB29_327
; %bb.326:                              ;   in Loop: Header=BB29_9 Depth=1
	global_load_u16 v36, v[11:12], off offset:-44
.LBB29_327:                             ;   in Loop: Header=BB29_9 Depth=1
	s_or_b32 exec_lo, exec_lo, s55
	v_subrev_nc_u32_e32 v0, 22, v19
	v_mov_b32_e32 v47, 0
	v_mov_b32_e32 v5, 0
	s_mov_b32 s55, exec_lo
	s_delay_alu instid0(VALU_DEP_3)
	v_cmpx_gt_i32_e64 s8, v0
	s_cbranch_execz .LBB29_329
; %bb.328:                              ;   in Loop: Header=BB29_9 Depth=1
	global_load_u16 v5, v[11:12], off offset:-42
.LBB29_329:                             ;   in Loop: Header=BB29_9 Depth=1
	s_or_b32 exec_lo, exec_lo, s55
	v_subrev_nc_u32_e32 v0, 21, v19
	s_mov_b32 s55, exec_lo
	s_delay_alu instid0(VALU_DEP_1)
	v_cmpx_gt_i32_e64 s8, v0
	s_cbranch_execz .LBB29_331
; %bb.330:                              ;   in Loop: Header=BB29_9 Depth=1
	global_load_u16 v47, v[11:12], off offset:-40
.LBB29_331:                             ;   in Loop: Header=BB29_9 Depth=1
	s_or_b32 exec_lo, exec_lo, s55
	v_subrev_nc_u32_e32 v0, 20, v19
	v_mov_b32_e32 v46, 0
	v_mov_b32_e32 v6, 0
	s_mov_b32 s55, exec_lo
	s_delay_alu instid0(VALU_DEP_3)
	v_cmpx_gt_i32_e64 s8, v0
	s_cbranch_execz .LBB29_333
; %bb.332:                              ;   in Loop: Header=BB29_9 Depth=1
	global_load_u16 v6, v[11:12], off offset:-38
.LBB29_333:                             ;   in Loop: Header=BB29_9 Depth=1
	s_or_b32 exec_lo, exec_lo, s55
	v_subrev_nc_u32_e32 v0, 19, v19
	s_mov_b32 s55, exec_lo
	s_delay_alu instid0(VALU_DEP_1)
	v_cmpx_gt_i32_e64 s8, v0
	s_cbranch_execz .LBB29_335
; %bb.334:                              ;   in Loop: Header=BB29_9 Depth=1
	global_load_u16 v46, v[11:12], off offset:-36
.LBB29_335:                             ;   in Loop: Header=BB29_9 Depth=1
	s_or_b32 exec_lo, exec_lo, s55
	v_subrev_nc_u32_e32 v0, 18, v19
	v_mov_b32_e32 v7, 0
	s_mov_b32 s55, exec_lo
	s_delay_alu instid0(VALU_DEP_2)
	v_cmpx_gt_i32_e64 s8, v0
	s_cbranch_execz .LBB29_337
; %bb.336:                              ;   in Loop: Header=BB29_9 Depth=1
	global_load_u16 v7, v[11:12], off offset:-34
.LBB29_337:                             ;   in Loop: Header=BB29_9 Depth=1
	s_or_b32 exec_lo, exec_lo, s55
	v_subrev_nc_u32_e32 v0, 17, v19
	s_mov_b32 s55, 0
	s_delay_alu instid0(VALU_DEP_1) | instskip(NEXT) | instid1(VALU_DEP_1)
	v_cmp_gt_i32_e64 s1, s8, v0
                                        ; implicit-def: $vgpr0_vgpr1
	s_and_saveexec_b32 s57, s1
; %bb.338:                              ;   in Loop: Header=BB29_9 Depth=1
	v_add_co_u32 v0, s1, 0xffffffe0, v11
	s_delay_alu instid0(VALU_DEP_1)
	v_add_co_ci_u32_e64 v1, s1, -1, v12, s1
	s_mov_b32 s56, exec_lo
; %bb.339:                              ;   in Loop: Header=BB29_9 Depth=1
	s_or_b32 exec_lo, exec_lo, s57
	s_delay_alu instid0(SALU_CYCLE_1)
	s_and_b32 s56, s56, exec_lo
	s_and_not1_saveexec_b32 s2, s2
	s_cbranch_execz .LBB29_121
.LBB29_340:                             ;   in Loop: Header=BB29_9 Depth=1
	global_load_b128 v[4:7], v[11:12], off offset:-46
	v_lshlrev_b64 v[0:1], 4, v[9:10]
	s_or_b32 s56, s56, exec_lo
	s_delay_alu instid0(VALU_DEP_1) | instskip(NEXT) | instid1(VALU_DEP_1)
	v_add_co_u32 v0, s1, s48, v0
	v_add_co_ci_u32_e64 v1, s1, s49, v1, s1
	s_delay_alu instid0(VALU_DEP_2) | instskip(NEXT) | instid1(VALU_DEP_1)
	v_add_co_u32 v0, s1, v0, 14
	v_add_co_ci_u32_e64 v1, s1, 0, v1, s1
	s_waitcnt vmcnt(0)
	v_lshrrev_b32_e32 v36, 16, v4
	v_lshrrev_b32_e32 v47, 16, v5
	v_lshrrev_b32_e32 v46, 16, v6
	s_or_b32 exec_lo, exec_lo, s2
	v_mov_b32_e32 v48, s55
	s_and_saveexec_b32 s1, s56
	s_cbranch_execnz .LBB29_122
	s_branch .LBB29_123
.LBB29_341:                             ;   in Loop: Header=BB29_9 Depth=1
	v_dual_mov_b32 v33, 0 :: v_dual_mov_b32 v4, 0
	s_and_saveexec_b32 s55, s0
	s_cbranch_execz .LBB29_343
; %bb.342:                              ;   in Loop: Header=BB29_9 Depth=1
	global_load_u16 v4, v[11:12], off offset:-30
.LBB29_343:                             ;   in Loop: Header=BB29_9 Depth=1
	s_or_b32 exec_lo, exec_lo, s55
	v_add_nc_u32_e32 v0, -15, v19
	s_mov_b32 s55, exec_lo
	s_delay_alu instid0(VALU_DEP_1)
	v_cmpx_gt_i32_e64 s8, v0
	s_cbranch_execz .LBB29_345
; %bb.344:                              ;   in Loop: Header=BB29_9 Depth=1
	global_load_u16 v33, v[11:12], off offset:-28
.LBB29_345:                             ;   in Loop: Header=BB29_9 Depth=1
	s_or_b32 exec_lo, exec_lo, s55
	v_dual_mov_b32 v51, 0 :: v_dual_add_nc_u32 v0, -14, v19
	v_mov_b32_e32 v5, 0
	s_mov_b32 s55, exec_lo
	s_delay_alu instid0(VALU_DEP_2)
	v_cmpx_gt_i32_e64 s8, v0
	s_cbranch_execz .LBB29_347
; %bb.346:                              ;   in Loop: Header=BB29_9 Depth=1
	global_load_u16 v5, v[11:12], off offset:-26
.LBB29_347:                             ;   in Loop: Header=BB29_9 Depth=1
	s_or_b32 exec_lo, exec_lo, s55
	v_add_nc_u32_e32 v0, -13, v19
	s_mov_b32 s55, exec_lo
	s_delay_alu instid0(VALU_DEP_1)
	v_cmpx_gt_i32_e64 s8, v0
	s_cbranch_execz .LBB29_349
; %bb.348:                              ;   in Loop: Header=BB29_9 Depth=1
	global_load_u16 v51, v[11:12], off offset:-24
.LBB29_349:                             ;   in Loop: Header=BB29_9 Depth=1
	s_or_b32 exec_lo, exec_lo, s55
	v_add_nc_u32_e32 v0, -12, v19
	v_mov_b32_e32 v50, 0
	v_mov_b32_e32 v6, 0
	s_mov_b32 s55, exec_lo
	s_delay_alu instid0(VALU_DEP_3)
	v_cmpx_gt_i32_e64 s8, v0
	s_cbranch_execz .LBB29_351
; %bb.350:                              ;   in Loop: Header=BB29_9 Depth=1
	global_load_u16 v6, v[11:12], off offset:-22
.LBB29_351:                             ;   in Loop: Header=BB29_9 Depth=1
	s_or_b32 exec_lo, exec_lo, s55
	v_add_nc_u32_e32 v0, -11, v19
	s_mov_b32 s55, exec_lo
	s_delay_alu instid0(VALU_DEP_1)
	v_cmpx_gt_i32_e64 s8, v0
	s_cbranch_execz .LBB29_353
; %bb.352:                              ;   in Loop: Header=BB29_9 Depth=1
	global_load_u16 v50, v[11:12], off offset:-20
.LBB29_353:                             ;   in Loop: Header=BB29_9 Depth=1
	s_or_b32 exec_lo, exec_lo, s55
	v_dual_mov_b32 v7, 0 :: v_dual_add_nc_u32 v0, -10, v19
	s_mov_b32 s55, exec_lo
	s_delay_alu instid0(VALU_DEP_1)
	v_cmpx_gt_i32_e64 s8, v0
	s_cbranch_execz .LBB29_355
; %bb.354:                              ;   in Loop: Header=BB29_9 Depth=1
	global_load_u16 v7, v[11:12], off offset:-18
.LBB29_355:                             ;   in Loop: Header=BB29_9 Depth=1
	s_or_b32 exec_lo, exec_lo, s55
	v_add_nc_u32_e32 v0, -9, v19
	s_mov_b32 s55, 0
	s_delay_alu instid0(VALU_DEP_1) | instskip(NEXT) | instid1(VALU_DEP_1)
	v_cmp_gt_i32_e64 s0, s8, v0
                                        ; implicit-def: $vgpr0_vgpr1
	s_and_saveexec_b32 s57, s0
; %bb.356:                              ;   in Loop: Header=BB29_9 Depth=1
	v_add_co_u32 v0, s0, v11, -16
	s_delay_alu instid0(VALU_DEP_1)
	v_add_co_ci_u32_e64 v1, s0, -1, v12, s0
	s_mov_b32 s56, exec_lo
; %bb.357:                              ;   in Loop: Header=BB29_9 Depth=1
	s_or_b32 exec_lo, exec_lo, s57
	s_delay_alu instid0(SALU_CYCLE_1)
	s_and_b32 s56, s56, exec_lo
	s_and_not1_saveexec_b32 s2, s2
	s_cbranch_execz .LBB29_189
.LBB29_358:                             ;   in Loop: Header=BB29_9 Depth=1
	global_load_b128 v[4:7], v[11:12], off offset:-30
	v_lshlrev_b64 v[0:1], 4, v[9:10]
	s_or_b32 s56, s56, exec_lo
	s_delay_alu instid0(VALU_DEP_1) | instskip(NEXT) | instid1(VALU_DEP_1)
	v_add_co_u32 v0, s0, s50, v0
	v_add_co_ci_u32_e64 v1, s0, s51, v1, s0
	s_delay_alu instid0(VALU_DEP_2) | instskip(NEXT) | instid1(VALU_DEP_1)
	v_add_co_u32 v0, s0, v0, 14
	v_add_co_ci_u32_e64 v1, s0, 0, v1, s0
	s_waitcnt vmcnt(0)
	v_lshrrev_b32_e32 v33, 16, v4
	v_lshrrev_b32_e32 v51, 16, v5
	;; [unrolled: 1-line block ×3, first 2 shown]
	s_or_b32 exec_lo, exec_lo, s2
	v_mov_b32_e32 v52, s55
	s_and_saveexec_b32 s0, s56
	s_cbranch_execnz .LBB29_190
	s_branch .LBB29_191
.LBB29_359:                             ;   in Loop: Header=BB29_9 Depth=1
	v_dual_mov_b32 v9, 0x77 :: v_dual_mov_b32 v0, 0x77
	s_mov_b32 s55, exec_lo
	v_cmpx_gt_u32_e64 s14, v18
	s_cbranch_execz .LBB29_361
; %bb.360:                              ;   in Loop: Header=BB29_9 Depth=1
	v_add_co_u32 v0, s0, s4, v14
	s_delay_alu instid0(VALU_DEP_1)
	v_add_co_ci_u32_e64 v1, s0, s5, v25, s0
	global_load_u8 v0, v[0:1], off
.LBB29_361:                             ;   in Loop: Header=BB29_9 Depth=1
	s_or_b32 exec_lo, exec_lo, s55
	v_add_nc_u32_e32 v1, 1, v18
	s_mov_b32 s55, exec_lo
	s_delay_alu instid0(VALU_DEP_1)
	v_cmpx_gt_u32_e64 s14, v1
	s_cbranch_execz .LBB29_363
; %bb.362:                              ;   in Loop: Header=BB29_9 Depth=1
	v_add_co_u32 v1, s0, s17, v14
	s_delay_alu instid0(VALU_DEP_1)
	v_add_co_ci_u32_e64 v2, s0, s18, v25, s0
	global_load_u8 v9, v[1:2], off
.LBB29_363:                             ;   in Loop: Header=BB29_9 Depth=1
	s_or_b32 exec_lo, exec_lo, s55
	v_dual_mov_b32 v4, 0x77 :: v_dual_add_nc_u32 v1, 2, v18
	v_mov_b32_e32 v7, 0x77
	s_mov_b32 s55, exec_lo
	s_delay_alu instid0(VALU_DEP_2)
	v_cmpx_gt_u32_e64 s14, v1
	s_cbranch_execz .LBB29_365
; %bb.364:                              ;   in Loop: Header=BB29_9 Depth=1
	v_add_co_u32 v1, s0, s19, v14
	s_delay_alu instid0(VALU_DEP_1)
	v_add_co_ci_u32_e64 v2, s0, s20, v25, s0
	global_load_u8 v7, v[1:2], off
.LBB29_365:                             ;   in Loop: Header=BB29_9 Depth=1
	s_or_b32 exec_lo, exec_lo, s55
	v_add_nc_u32_e32 v1, 3, v18
	s_mov_b32 s55, exec_lo
	s_delay_alu instid0(VALU_DEP_1)
	v_cmpx_gt_u32_e64 s14, v1
	s_cbranch_execz .LBB29_367
; %bb.366:                              ;   in Loop: Header=BB29_9 Depth=1
	v_add_co_u32 v1, s0, s21, v14
	s_delay_alu instid0(VALU_DEP_1)
	v_add_co_ci_u32_e64 v2, s0, s22, v25, s0
	global_load_u8 v4, v[1:2], off
.LBB29_367:                             ;   in Loop: Header=BB29_9 Depth=1
	s_or_b32 exec_lo, exec_lo, s55
	v_add_nc_u32_e32 v1, 4, v18
	v_mov_b32_e32 v37, 0x77
	s_delay_alu instid0(VALU_DEP_2) | instskip(SKIP_1) | instid1(VALU_DEP_2)
	v_cmp_gt_u32_e64 s0, s14, v1
	v_mov_b32_e32 v1, 0x77
	s_and_saveexec_b32 s55, s0
	s_cbranch_execz .LBB29_369
; %bb.368:                              ;   in Loop: Header=BB29_9 Depth=1
	v_add_co_u32 v1, s0, s23, v14
	s_delay_alu instid0(VALU_DEP_1)
	v_add_co_ci_u32_e64 v2, s0, s24, v25, s0
	global_load_u8 v1, v[1:2], off
.LBB29_369:                             ;   in Loop: Header=BB29_9 Depth=1
	s_or_b32 exec_lo, exec_lo, s55
	v_add_nc_u32_e32 v2, 5, v18
	s_mov_b32 s55, exec_lo
	s_delay_alu instid0(VALU_DEP_1)
	v_cmpx_gt_u32_e64 s14, v2
	s_cbranch_execz .LBB29_371
; %bb.370:                              ;   in Loop: Header=BB29_9 Depth=1
	v_add_co_u32 v2, s0, s25, v14
	s_delay_alu instid0(VALU_DEP_1)
	v_add_co_ci_u32_e64 v3, s0, s26, v25, s0
	global_load_u8 v37, v[2:3], off
.LBB29_371:                             ;   in Loop: Header=BB29_9 Depth=1
	s_or_b32 exec_lo, exec_lo, s55
	v_dual_mov_b32 v35, 0x77 :: v_dual_add_nc_u32 v2, 6, v18
	v_mov_b32_e32 v36, 0x77
	s_mov_b32 s55, exec_lo
	s_delay_alu instid0(VALU_DEP_2)
	v_cmpx_gt_u32_e64 s14, v2
	s_cbranch_execz .LBB29_373
; %bb.372:                              ;   in Loop: Header=BB29_9 Depth=1
	v_add_co_u32 v2, s0, s27, v14
	s_delay_alu instid0(VALU_DEP_1)
	v_add_co_ci_u32_e64 v3, s0, s28, v25, s0
	global_load_u8 v36, v[2:3], off
.LBB29_373:                             ;   in Loop: Header=BB29_9 Depth=1
	s_or_b32 exec_lo, exec_lo, s55
	v_add_nc_u32_e32 v2, 7, v18
	s_mov_b32 s55, exec_lo
	s_delay_alu instid0(VALU_DEP_1)
	v_cmpx_gt_u32_e64 s14, v2
	s_cbranch_execz .LBB29_375
; %bb.374:                              ;   in Loop: Header=BB29_9 Depth=1
	v_add_co_u32 v2, s0, s29, v14
	s_delay_alu instid0(VALU_DEP_1)
	v_add_co_ci_u32_e64 v3, s0, s30, v25, s0
	global_load_u8 v35, v[2:3], off
.LBB29_375:                             ;   in Loop: Header=BB29_9 Depth=1
	s_or_b32 exec_lo, exec_lo, s55
	v_add_nc_u32_e32 v2, 8, v18
	v_mov_b32_e32 v34, 0x77
	s_delay_alu instid0(VALU_DEP_2) | instskip(SKIP_1) | instid1(VALU_DEP_2)
	v_cmp_gt_u32_e64 s0, s14, v2
	v_mov_b32_e32 v2, 0x77
	s_and_saveexec_b32 s55, s0
	s_cbranch_execz .LBB29_377
; %bb.376:                              ;   in Loop: Header=BB29_9 Depth=1
	v_add_co_u32 v2, s0, s31, v14
	s_delay_alu instid0(VALU_DEP_1)
	v_add_co_ci_u32_e64 v3, s0, s33, v25, s0
	global_load_u8 v2, v[2:3], off
.LBB29_377:                             ;   in Loop: Header=BB29_9 Depth=1
	s_or_b32 exec_lo, exec_lo, s55
	v_add_nc_u32_e32 v3, 9, v18
	s_mov_b32 s55, exec_lo
	s_delay_alu instid0(VALU_DEP_1)
	v_cmpx_gt_u32_e64 s14, v3
	s_cbranch_execz .LBB29_379
; %bb.378:                              ;   in Loop: Header=BB29_9 Depth=1
	v_add_co_u32 v5, s0, s34, v14
	s_delay_alu instid0(VALU_DEP_1)
	v_add_co_ci_u32_e64 v6, s0, s35, v25, s0
	global_load_u8 v34, v[5:6], off
.LBB29_379:                             ;   in Loop: Header=BB29_9 Depth=1
	s_or_b32 exec_lo, exec_lo, s55
	v_add_nc_u32_e32 v3, 10, v18
	v_mov_b32_e32 v13, 0x77
	v_mov_b32_e32 v33, 0x77
	s_mov_b32 s55, exec_lo
	s_delay_alu instid0(VALU_DEP_3)
	v_cmpx_gt_u32_e64 s14, v3
	s_cbranch_execz .LBB29_381
; %bb.380:                              ;   in Loop: Header=BB29_9 Depth=1
	v_add_co_u32 v5, s0, s36, v14
	s_delay_alu instid0(VALU_DEP_1)
	v_add_co_ci_u32_e64 v6, s0, s37, v25, s0
	global_load_u8 v33, v[5:6], off
.LBB29_381:                             ;   in Loop: Header=BB29_9 Depth=1
	s_or_b32 exec_lo, exec_lo, s55
	v_add_nc_u32_e32 v3, 11, v18
	s_mov_b32 s55, exec_lo
	s_delay_alu instid0(VALU_DEP_1)
	v_cmpx_gt_u32_e64 s14, v3
	s_cbranch_execz .LBB29_383
; %bb.382:                              ;   in Loop: Header=BB29_9 Depth=1
	v_add_co_u32 v5, s0, s38, v14
	s_delay_alu instid0(VALU_DEP_1)
	v_add_co_ci_u32_e64 v6, s0, s39, v25, s0
	global_load_u8 v13, v[5:6], off
.LBB29_383:                             ;   in Loop: Header=BB29_9 Depth=1
	s_or_b32 exec_lo, exec_lo, s55
	v_dual_mov_b32 v24, 0x77 :: v_dual_add_nc_u32 v3, 12, v18
	s_delay_alu instid0(VALU_DEP_1) | instskip(SKIP_1) | instid1(VALU_DEP_2)
	v_cmp_gt_u32_e64 s0, s14, v3
	v_mov_b32_e32 v3, 0x77
	s_and_saveexec_b32 s55, s0
	s_cbranch_execz .LBB29_385
; %bb.384:                              ;   in Loop: Header=BB29_9 Depth=1
	v_add_co_u32 v5, s0, s40, v14
	s_delay_alu instid0(VALU_DEP_1)
	v_add_co_ci_u32_e64 v6, s0, s41, v25, s0
	global_load_u8 v3, v[5:6], off
.LBB29_385:                             ;   in Loop: Header=BB29_9 Depth=1
	s_or_b32 exec_lo, exec_lo, s55
	v_add_nc_u32_e32 v5, 13, v18
	s_mov_b32 s55, exec_lo
	s_delay_alu instid0(VALU_DEP_1)
	v_cmpx_gt_u32_e64 s14, v5
	s_cbranch_execz .LBB29_387
; %bb.386:                              ;   in Loop: Header=BB29_9 Depth=1
	v_add_co_u32 v5, s0, s42, v14
	s_delay_alu instid0(VALU_DEP_1)
	v_add_co_ci_u32_e64 v6, s0, s43, v25, s0
	global_load_u8 v24, v[5:6], off
.LBB29_387:                             ;   in Loop: Header=BB29_9 Depth=1
	s_or_b32 exec_lo, exec_lo, s55
	v_add_nc_u32_e32 v5, 14, v18
	v_mov_b32_e32 v23, 0x77
	s_mov_b32 s55, exec_lo
	s_delay_alu instid0(VALU_DEP_2)
	v_cmpx_gt_u32_e64 s14, v5
	s_cbranch_execz .LBB29_389
; %bb.388:                              ;   in Loop: Header=BB29_9 Depth=1
	v_add_co_u32 v5, s0, s44, v14
	s_delay_alu instid0(VALU_DEP_1)
	v_add_co_ci_u32_e64 v6, s0, s45, v25, s0
	global_load_u8 v23, v[5:6], off
.LBB29_389:                             ;   in Loop: Header=BB29_9 Depth=1
	s_or_b32 exec_lo, exec_lo, s55
	v_add_nc_u32_e32 v5, 15, v18
	s_mov_b32 s55, 0
	s_delay_alu instid0(VALU_DEP_1) | instskip(NEXT) | instid1(VALU_DEP_1)
	v_cmp_gt_u32_e64 s0, s14, v5
                                        ; implicit-def: $vgpr5_vgpr6
	s_and_saveexec_b32 s56, s0
	s_delay_alu instid0(SALU_CYCLE_1)
	s_xor_b32 s56, exec_lo, s56
; %bb.390:                              ;   in Loop: Header=BB29_9 Depth=1
	v_add_co_u32 v5, s0, s46, v14
	s_delay_alu instid0(VALU_DEP_1)
	v_add_co_ci_u32_e64 v6, s0, s47, v25, s0
	s_mov_b32 s55, exec_lo
; %bb.391:                              ;   in Loop: Header=BB29_9 Depth=1
	s_or_b32 exec_lo, exec_lo, s56
	s_movk_i32 s56, 0x77
	s_and_b32 s55, s55, exec_lo
                                        ; implicit-def: $vgpr25
                                        ; implicit-def: $vgpr14
	s_and_not1_saveexec_b32 s2, s2
	s_cbranch_execz .LBB29_16
.LBB29_392:                             ;   in Loop: Header=BB29_9 Depth=1
	s_waitcnt vmcnt(0)
	v_lshrrev_b32_e32 v0, 28, v25
	s_or_b32 s55, s55, exec_lo
	s_delay_alu instid0(VALU_DEP_1) | instskip(NEXT) | instid1(VALU_DEP_1)
	v_add_nc_u32_e32 v0, v14, v0
	v_ashrrev_i32_e32 v0, 4, v0
	s_delay_alu instid0(VALU_DEP_1) | instskip(NEXT) | instid1(VALU_DEP_1)
	v_ashrrev_i32_e32 v1, 31, v0
	v_lshlrev_b64 v[0:1], 4, v[0:1]
	s_delay_alu instid0(VALU_DEP_1) | instskip(NEXT) | instid1(VALU_DEP_1)
	v_add_co_u32 v25, s0, s4, v0
	v_add_co_ci_u32_e64 v26, s0, s5, v1, s0
	global_load_b128 v[0:3], v[25:26], off
	s_waitcnt vmcnt(0)
	v_lshrrev_b64 v[4:5], 24, v[0:1]
	v_add_co_u32 v5, s0, v25, 15
	v_lshrrev_b32_e32 v9, 8, v0
	v_lshrrev_b32_e32 v7, 16, v0
	;; [unrolled: 1-line block ×7, first 2 shown]
	v_lshrrev_b64 v[13:14], 24, v[2:3]
	v_lshrrev_b32_e32 v24, 8, v3
	v_lshrrev_b32_e32 v23, 16, v3
	v_add_co_ci_u32_e64 v6, s0, 0, v26, s0
	s_or_b32 exec_lo, exec_lo, s2
	v_mov_b32_e32 v25, s56
	s_and_saveexec_b32 s0, s55
	s_cbranch_execnz .LBB29_17
	s_branch .LBB29_18
.LBB29_393:
	s_or_b32 exec_lo, exec_lo, s53
.LBB29_394:
	s_delay_alu instid0(SALU_CYCLE_1) | instskip(SKIP_3) | instid1(VALU_DEP_3)
	s_or_b32 exec_lo, exec_lo, s9
	v_mov_b32_dpp v0, v22 quad_perm:[1,0,3,2] row_mask:0xf bank_mask:0xf
	v_cmp_gt_i32_e32 vcc_lo, s3, v8
	v_cmp_eq_u32_e64 s0, 0, v16
	v_add_f32_e32 v0, v22, v0
	s_delay_alu instid0(VALU_DEP_2) | instskip(NEXT) | instid1(VALU_DEP_1)
	s_and_b32 s0, s0, vcc_lo
	v_mov_b32_dpp v1, v0 quad_perm:[2,3,0,1] row_mask:0xf bank_mask:0xf
	s_delay_alu instid0(VALU_DEP_1) | instskip(NEXT) | instid1(VALU_DEP_1)
	v_add_f32_e32 v0, v0, v1
	v_mov_b32_dpp v1, v0 row_ror:4 row_mask:0xf bank_mask:0xf
	s_delay_alu instid0(VALU_DEP_1) | instskip(NEXT) | instid1(VALU_DEP_1)
	v_add_f32_e32 v0, v0, v1
	v_mov_b32_dpp v1, v0 row_ror:8 row_mask:0xf bank_mask:0xf
	s_delay_alu instid0(VALU_DEP_1)
	v_add_f32_e32 v0, v0, v1
	ds_swizzle_b32 v1, v0 offset:swizzle(BROADCAST,32,15)
	s_waitcnt lgkmcnt(0)
	v_dual_add_f32 v0, v0, v1 :: v_dual_mov_b32 v1, 0
	ds_bpermute_b32 v0, v1, v0 offset:124
	s_and_saveexec_b32 s1, s0
	s_cbranch_execz .LBB29_400
; %bb.395:
	s_waitcnt lgkmcnt(0)
	v_and_b32_e32 v1, 0x7f800000, v0
	s_delay_alu instid0(VALU_DEP_1) | instskip(SKIP_1) | instid1(SALU_CYCLE_1)
	v_cmp_ne_u32_e32 vcc_lo, 0x7f800000, v1
                                        ; implicit-def: $vgpr1
	s_and_saveexec_b32 s0, vcc_lo
	s_xor_b32 s0, exec_lo, s0
; %bb.396:
	v_bfe_u32 v1, v0, 16, 1
	s_delay_alu instid0(VALU_DEP_1)
	v_add3_u32 v1, v0, v1, 0x7fff
                                        ; implicit-def: $vgpr0
; %bb.397:
	s_and_not1_saveexec_b32 s0, s0
; %bb.398:
	v_and_b32_e32 v1, 0xffff, v0
	v_or_b32_e32 v2, 0x10000, v0
	s_delay_alu instid0(VALU_DEP_2) | instskip(NEXT) | instid1(VALU_DEP_2)
	v_cmp_eq_u32_e32 vcc_lo, 0, v1
	v_cndmask_b32_e32 v1, v2, v0, vcc_lo
; %bb.399:
	s_or_b32 exec_lo, exec_lo, s0
	v_ashrrev_i32_e32 v9, 31, v8
	s_delay_alu instid0(VALU_DEP_1) | instskip(NEXT) | instid1(VALU_DEP_1)
	v_lshlrev_b64 v[2:3], 1, v[8:9]
	v_add_co_u32 v2, vcc_lo, s10, v2
	s_delay_alu instid0(VALU_DEP_2)
	v_add_co_ci_u32_e32 v3, vcc_lo, s11, v3, vcc_lo
	global_store_d16_hi_b16 v[2:3], v1, off
.LBB29_400:
	s_nop 0
	s_sendmsg sendmsg(MSG_DEALLOC_VGPRS)
	s_endpgm
	.section	.rodata,"a",@progbits
	.p2align	6, 0x0
	.amdhsa_kernel _Z26kgemm_4bit_inference_naiveI12hip_bfloat16Li128ELi16EEviiiPT_PhPfPKfS2_iiii
		.amdhsa_group_segment_fixed_size 32
		.amdhsa_private_segment_fixed_size 0
		.amdhsa_kernarg_size 72
		.amdhsa_user_sgpr_count 15
		.amdhsa_user_sgpr_dispatch_ptr 0
		.amdhsa_user_sgpr_queue_ptr 0
		.amdhsa_user_sgpr_kernarg_segment_ptr 1
		.amdhsa_user_sgpr_dispatch_id 0
		.amdhsa_user_sgpr_private_segment_size 0
		.amdhsa_wavefront_size32 1
		.amdhsa_uses_dynamic_stack 0
		.amdhsa_enable_private_segment 0
		.amdhsa_system_sgpr_workgroup_id_x 1
		.amdhsa_system_sgpr_workgroup_id_y 0
		.amdhsa_system_sgpr_workgroup_id_z 0
		.amdhsa_system_sgpr_workgroup_info 0
		.amdhsa_system_vgpr_workitem_id 0
		.amdhsa_next_free_vgpr 53
		.amdhsa_next_free_sgpr 58
		.amdhsa_reserve_vcc 1
		.amdhsa_float_round_mode_32 0
		.amdhsa_float_round_mode_16_64 0
		.amdhsa_float_denorm_mode_32 3
		.amdhsa_float_denorm_mode_16_64 3
		.amdhsa_dx10_clamp 1
		.amdhsa_ieee_mode 1
		.amdhsa_fp16_overflow 0
		.amdhsa_workgroup_processor_mode 1
		.amdhsa_memory_ordered 1
		.amdhsa_forward_progress 0
		.amdhsa_shared_vgpr_count 0
		.amdhsa_exception_fp_ieee_invalid_op 0
		.amdhsa_exception_fp_denorm_src 0
		.amdhsa_exception_fp_ieee_div_zero 0
		.amdhsa_exception_fp_ieee_overflow 0
		.amdhsa_exception_fp_ieee_underflow 0
		.amdhsa_exception_fp_ieee_inexact 0
		.amdhsa_exception_int_div_zero 0
	.end_amdhsa_kernel
	.section	.text._Z26kgemm_4bit_inference_naiveI12hip_bfloat16Li128ELi16EEviiiPT_PhPfPKfS2_iiii,"axG",@progbits,_Z26kgemm_4bit_inference_naiveI12hip_bfloat16Li128ELi16EEviiiPT_PhPfPKfS2_iiii,comdat
.Lfunc_end29:
	.size	_Z26kgemm_4bit_inference_naiveI12hip_bfloat16Li128ELi16EEviiiPT_PhPfPKfS2_iiii, .Lfunc_end29-_Z26kgemm_4bit_inference_naiveI12hip_bfloat16Li128ELi16EEviiiPT_PhPfPKfS2_iiii
                                        ; -- End function
	.section	.AMDGPU.csdata,"",@progbits
; Kernel info:
; codeLenInByte = 13500
; NumSgprs: 60
; NumVgprs: 53
; ScratchSize: 0
; MemoryBound: 0
; FloatMode: 240
; IeeeMode: 1
; LDSByteSize: 32 bytes/workgroup (compile time only)
; SGPRBlocks: 7
; VGPRBlocks: 6
; NumSGPRsForWavesPerEU: 60
; NumVGPRsForWavesPerEU: 53
; Occupancy: 16
; WaveLimiterHint : 0
; COMPUTE_PGM_RSRC2:SCRATCH_EN: 0
; COMPUTE_PGM_RSRC2:USER_SGPR: 15
; COMPUTE_PGM_RSRC2:TRAP_HANDLER: 0
; COMPUTE_PGM_RSRC2:TGID_X_EN: 1
; COMPUTE_PGM_RSRC2:TGID_Y_EN: 0
; COMPUTE_PGM_RSRC2:TGID_Z_EN: 0
; COMPUTE_PGM_RSRC2:TIDIG_COMP_CNT: 0
	.section	.text._Z26kgemm_4bit_inference_naiveIfLi128ELi32EEviiiPT_PhPfPKfS1_iiii,"axG",@progbits,_Z26kgemm_4bit_inference_naiveIfLi128ELi32EEviiiPT_PhPfPKfS1_iiii,comdat
